;; amdgpu-corpus repo=ROCm/aiter kind=harvested arch=n/a opt=n/a

/root/src/amdgpu-assembly/repos/ROCm__aiter/hsa/gfx942/fmha_v3_bwd/bwd_hd128_bf16_causal_a32_rtz.co:	file format elf64-amdgpu

Disassembly of section .text:

0000000000003e00 <_ZN5aiter34fmha_bwd_hd128_bf16_causal_a32_rtzE>:
	s_and_b32 s1, s1, 0xffff                                   // 000000003E00: 8601FF01 0000FFFF
	s_load_dwordx2 s[32:33], s[0:1], 0x0                       // 000000003E08: C0060800 00000000
	s_load_dwordx2 s[36:37], s[0:1], 0x10                      // 000000003E10: C0060900 00000010
	s_load_dwordx2 s[40:41], s[0:1], 0x20                      // 000000003E18: C0060A00 00000020
	s_load_dwordx2 s[8:9], s[0:1], 0x30                        // 000000003E20: C0060200 00000030
	s_load_dwordx2 s[12:13], s[0:1], 0x40                      // 000000003E28: C0060300 00000040
	s_load_dwordx2 s[16:17], s[0:1], 0x50                      // 000000003E30: C0060400 00000050
	s_load_dwordx2 s[20:21], s[0:1], 0x60                      // 000000003E38: C0060500 00000060
	s_load_dwordx2 s[24:25], s[0:1], 0x70                      // 000000003E40: C0060600 00000070
	s_load_dwordx2 s[28:29], s[0:1], 0x80                      // 000000003E48: C0060700 00000080
	s_load_dword s48, s[0:1], 0x90                             // 000000003E50: C0020C00 00000090
	s_load_dword s49, s[0:1], 0xa0                             // 000000003E58: C0020C40 000000A0
	s_load_dword s50, s[0:1], 0xb0                             // 000000003E60: C0020C80 000000B0
	s_load_dword s51, s[0:1], 0xc0                             // 000000003E68: C0020CC0 000000C0
	s_load_dword s52, s[0:1], 0xd0                             // 000000003E70: C0020D00 000000D0
	s_load_dword s53, s[0:1], 0xe0                             // 000000003E78: C0020D40 000000E0
	s_load_dword s70, s[0:1], 0xf0                             // 000000003E80: C0021180 000000F0
	s_load_dword s44, s[0:1], 0x100                            // 000000003E88: C0020B00 00000100
	s_load_dword s5, s[0:1], 0x110                             // 000000003E90: C0020140 00000110
	s_load_dword s6, s[0:1], 0x120                             // 000000003E98: C0020180 00000120
	s_load_dword s7, s[0:1], 0x130                             // 000000003EA0: C00201C0 00000130
	s_load_dword s46, s[0:1], 0x140                            // 000000003EA8: C0020B80 00000140
	v_lshrrev_b32_e32 v1, 10, v0                               // 000000003EB0: 2002008A
	v_lshrrev_b32_e32 v2, 10, v1                               // 000000003EB4: 2004028A
	v_and_b32_e32 v2, 0x3ff, v2                                // 000000003EB8: 260404FF 000003FF
	v_and_b32_e32 v1, 0x3ff, v1                                // 000000003EC0: 260202FF 000003FF
	v_and_b32_e32 v0, 0x3ff, v0                                // 000000003EC8: 260000FF 000003FF
	v_lshrrev_b32_e32 v3, 6, v0                                // 000000003ED0: 20060086
	v_and_b32_e32 v0, 63, v0                                   // 000000003ED4: 260000BF
	s_mov_b32 s2, s2                                           // 000000003ED8: BE820002
	s_mov_b32 s3, s3                                           // 000000003EDC: BE830003
	s_mov_b32 s4, s4                                           // 000000003EE0: BE840004
	v_readfirstlane_b32 s47, v3                                // 000000003EE4: 7E5E0503
	s_waitcnt lgkmcnt(0)                                       // 000000003EE8: BF8CC07F
	s_mov_b32 s10, 0x80000000                                  // 000000003EEC: BE8A00FF 80000000
	s_mov_b32 s14, 0x80000000                                  // 000000003EF4: BE8E00FF 80000000
	s_mov_b32 s18, 0x80000000                                  // 000000003EFC: BE9200FF 80000000
	s_mov_b32 s22, 0x80000000                                  // 000000003F04: BE9600FF 80000000
	s_mov_b32 s26, 0x80000000                                  // 000000003F0C: BE9A00FF 80000000
	s_mov_b32 s30, 0x80000000                                  // 000000003F14: BE9E00FF 80000000
	s_mov_b32 s34, 0x80000000                                  // 000000003F1C: BEA200FF 80000000
	s_mov_b32 s38, 0x80000000                                  // 000000003F24: BEA600FF 80000000
	s_mov_b32 s42, 0x80000000                                  // 000000003F2C: BEAA00FF 80000000
	s_mov_b32 s11, 0x20000                                     // 000000003F34: BE8B00FF 00020000
	s_mov_b32 s15, 0x20000                                     // 000000003F3C: BE8F00FF 00020000
	s_mov_b32 s19, 0x20000                                     // 000000003F44: BE9300FF 00020000
	s_mov_b32 s23, 0x20000                                     // 000000003F4C: BE9700FF 00020000
	s_mov_b32 s27, 0x20000                                     // 000000003F54: BE9B00FF 00020000
	s_mov_b32 s31, 0x20000                                     // 000000003F5C: BE9F00FF 00020000
	s_mov_b32 s35, 0x20000                                     // 000000003F64: BEA300FF 00020000
	s_mov_b32 s39, 0x20000                                     // 000000003F6C: BEA700FF 00020000
	s_mov_b32 s43, 0x20000                                     // 000000003F74: BEAB00FF 00020000
	s_and_b32 s9, s9, 0xffff                                   // 000000003F7C: 8609FF09 0000FFFF
	s_and_b32 s13, s13, 0xffff                                 // 000000003F84: 860DFF0D 0000FFFF
	s_and_b32 s17, s17, 0xffff                                 // 000000003F8C: 8611FF11 0000FFFF
	s_and_b32 s21, s21, 0xffff                                 // 000000003F94: 8615FF15 0000FFFF
	s_and_b32 s25, s25, 0xffff                                 // 000000003F9C: 8619FF19 0000FFFF
	s_and_b32 s29, s29, 0xffff                                 // 000000003FA4: 861DFF1D 0000FFFF
	s_and_b32 s33, s33, 0xffff                                 // 000000003FAC: 8621FF21 0000FFFF
	s_and_b32 s37, s37, 0xffff                                 // 000000003FB4: 8625FF25 0000FFFF
	s_and_b32 s41, s41, 0xffff                                 // 000000003FBC: 8629FF29 0000FFFF
	s_or_b32 s9, s9, 0x40000                                   // 000000003FC4: 8709FF09 00040000
	s_or_b32 s13, s13, 0x40000                                 // 000000003FCC: 870DFF0D 00040000
	s_or_b32 s17, s17, 0x40000                                 // 000000003FD4: 8711FF11 00040000
	s_or_b32 s21, s21, 0x40000                                 // 000000003FDC: 8715FF15 00040000
	s_or_b32 s25, s25, 0x40000                                 // 000000003FE4: 8719FF19 00040000
	s_or_b32 s29, s29, 0x40000                                 // 000000003FEC: 871DFF1D 00040000
	s_or_b32 s33, s33, 0x40000                                 // 000000003FF4: 8721FF21 00040000
	s_or_b32 s37, s37, 0x40000                                 // 000000003FFC: 8725FF25 00040000
	s_or_b32 s41, s41, 0x40000                                 // 000000004004: 8729FF29 00040000
	v_accvgpr_write_b32 a255, 0                                // 00000000400C: D3D940FF 18000080
	v_mov_b32_e32 v251, 0                                      // 000000004014: 7FF60280
	s_mov_b32 s82, s8                                          // 000000004018: BED20008
	s_mov_b32 s84, s12                                         // 00000000401C: BED4000C
	s_mov_b32 s86, s16                                         // 000000004020: BED60010
	s_mov_b32 s88, s20                                         // 000000004024: BED80014
	s_mov_b32 s90, s32                                         // 000000004028: BEDA0020
	s_mov_b32 s83, s9                                          // 00000000402C: BED30009
	s_mov_b32 s85, s13                                         // 000000004030: BED5000D
	s_mov_b32 s87, s17                                         // 000000004034: BED70011
	s_mov_b32 s89, s21                                         // 000000004038: BED90015
	s_mov_b32 s91, s33                                         // 00000000403C: BEDB0021
	s_mov_b32 s71, s3                                          // 000000004040: BEC70003
	v_cvt_f32_u32_e32 v28, s44                                 // 000000004044: 7E380C2C
	s_sub_i32 s60, 0, s44                                      // 000000004048: 81BC2C80
	v_rcp_iflag_f32_e32 v28, v28                               // 00000000404C: 7E38471C
	s_nop 0                                                    // 000000004050: BF800000
	v_mul_f32_e32 v28, 0x4f7ffffe, v28                         // 000000004054: 0A3838FF 4F7FFFFE
	v_cvt_u32_f32_e32 v28, v28                                 // 00000000405C: 7E380F1C
	v_mul_lo_u32 v29, s60, v28                                 // 000000004060: D285001D 0002383C
	v_mul_hi_u32 v29, v28, v29                                 // 000000004068: D286001D 00023B1C
	v_add_u32_e32 v28, v28, v29                                // 000000004070: 68383B1C
	v_mul_hi_u32 v28, s71, v28                                 // 000000004074: D286001C 00023847
	v_mul_lo_u32 v29, v28, s44                                 // 00000000407C: D285001D 0000591C
	v_sub_u32_e32 v31, s71, v29                                // 000000004084: 6A3E3A47
	v_add_u32_e32 v30, 1, v28                                  // 000000004088: 683C3881
	v_cmp_le_u32_e32 vcc, s44, v31                             // 00000000408C: 7D963E2C
	v_subrev_u32_e32 v29, s44, v31                             // 000000004090: 6C3A3E2C
	s_nop 0                                                    // 000000004094: BF800000
	v_cndmask_b32_e32 v28, v28, v30, vcc                       // 000000004098: 00383D1C
	v_cndmask_b32_e32 v31, v31, v29, vcc                       // 00000000409C: 003E3B1F
	v_add_u32_e32 v29, 1, v28                                  // 0000000040A0: 683A3881
	v_cmp_le_u32_e32 vcc, s44, v31                             // 0000000040A4: 7D963E2C
	s_nop 1                                                    // 0000000040A8: BF800001
	v_cndmask_b32_e32 v31, v28, v29, vcc                       // 0000000040AC: 003E3B1C
	s_nop 3                                                    // 0000000040B0: BF800003
	v_readfirstlane_b32 s45, v31                               // 0000000040B4: 7E5A051F
	s_nop 3                                                    // 0000000040B8: BF800003
	s_add_u32 s71, 0x80, s50                                   // 0000000040BC: 804732FF 00000080
	s_mov_b32 s74, 0xc0                                        // 0000000040C4: BECA00FF 000000C0
	v_cvt_f32_u32_e32 v28, s74                                 // 0000000040CC: 7E380C4A
	s_sub_i32 s60, 0, s74                                      // 0000000040D0: 81BC4A80
	v_rcp_iflag_f32_e32 v28, v28                               // 0000000040D4: 7E38471C
	s_nop 0                                                    // 0000000040D8: BF800000
	v_mul_f32_e32 v28, 0x4f7ffffe, v28                         // 0000000040DC: 0A3838FF 4F7FFFFE
	v_cvt_u32_f32_e32 v28, v28                                 // 0000000040E4: 7E380F1C
	v_mul_lo_u32 v29, s60, v28                                 // 0000000040E8: D285001D 0002383C
	v_mul_hi_u32 v29, v28, v29                                 // 0000000040F0: D286001D 00023B1C
	v_add_u32_e32 v28, v28, v29                                // 0000000040F8: 68383B1C
	v_mul_hi_u32 v28, s71, v28                                 // 0000000040FC: D286001C 00023847
	v_mul_lo_u32 v29, v28, s74                                 // 000000004104: D285001D 0000951C
	v_sub_u32_e32 v31, s71, v29                                // 00000000410C: 6A3E3A47
	v_add_u32_e32 v30, 1, v28                                  // 000000004110: 683C3881
	v_cmp_le_u32_e32 vcc, s74, v31                             // 000000004114: 7D963E4A
	v_subrev_u32_e32 v29, s74, v31                             // 000000004118: 6C3A3E4A
	s_nop 0                                                    // 00000000411C: BF800000
	v_cndmask_b32_e32 v28, v28, v30, vcc                       // 000000004120: 00383D1C
	v_cndmask_b32_e32 v31, v31, v29, vcc                       // 000000004124: 003E3B1F
	v_add_u32_e32 v29, 1, v28                                  // 000000004128: 683A3881
	v_cmp_le_u32_e32 vcc, s74, v31                             // 00000000412C: 7D963E4A
	s_nop 1                                                    // 000000004130: BF800001
	v_cndmask_b32_e32 v31, v28, v29, vcc                       // 000000004134: 003E3B1C
	s_nop 3                                                    // 000000004138: BF800003
	v_readfirstlane_b32 s77, v31                               // 00000000413C: 7E9A051F
	s_nop 3                                                    // 000000004140: BF800003
	v_mov_b32_e32 v28, s48                                     // 000000004144: 7E380230
	v_mul_f32_e32 v28, s49, v28                                // 000000004148: 0A383831
	s_mov_b32 s66, 0                                           // 00000000414C: BEC20080
	s_mov_b32 s58, s50                                         // 000000004150: BEBA0032
	s_mov_b32 s59, 0                                           // 000000004154: BEBB0080
	s_mov_b32 s63, 0x5040100                                   // 000000004158: BEBF00FF 05040100
	s_mov_b32 s64, 0x7060302                                   // 000000004160: BEC000FF 07060302
	v_readfirstlane_b32 s57, v28                               // 000000004168: 7E72051C
	v_mov_b32_e32 v30, 0x3020706                               // 00000000416C: 7E3C02FF 03020706
	v_mov_b32_e32 v28, s63                                     // 000000004174: 7E38023F
	v_and_b32_e32 v29, 1, v0                                   // 000000004178: 263A0081
	v_cmp_eq_u32_e32 vcc, 1, v29                               // 00000000417C: 7D943A81
	s_mov_b32 s67, 0x2000                                      // 000000004180: BEC300FF 00002000
	v_cndmask_b32_e32 v15, v28, v30, vcc                       // 000000004188: 001E3D1C
	v_mov_b32_e32 v249, 0xffff0000                             // 00000000418C: 7FF202FF FFFF0000
	v_mov_b32_e32 v250, 0x7fff0000                             // 000000004194: 7FF402FF 7FFF0000
	v_mov_b32_e32 v251, 0x7fff                                 // 00000000419C: 7FF602FF 00007FFF
	s_cmp_lt_u32 s47, 2                                        // 0000000041A4: BF0A822F
	s_cselect_b32 s24, s24, s28                                // 0000000041A8: 85181C18
	s_cselect_b32 s25, s25, s29                                // 0000000041AC: 85191D19
	s_cselect_b32 s26, s26, s30                                // 0000000041B0: 851A1E1A
	s_cselect_b32 s27, s27, s31                                // 0000000041B4: 851B1F1B
	s_lshr_b32 s60, s47, 1                                     // 0000000041B8: 8F3C812F
	s_lshl_b32 s60, s60, 8                                     // 0000000041BC: 8E3C883C
	s_add_u32 s80, 0xc600, s60                                 // 0000000041C0: 80503CFF 0000C600
	s_add_u32 s81, 0x200, s80                                  // 0000000041C8: 805150FF 00000200
	s_mov_b32 s75, 0                                           // 0000000041D0: BECB0080
	s_mov_b32 s76, 1                                           // 0000000041D4: BECC0081
	s_lshl_b32 s60, s2, 1                                      // 0000000041D8: 8E3C8102
	s_add_u32 s60, 1, s60                                      // 0000000041DC: 803C3C81
	s_mul_i32 s60, 0xc0, s60                                   // 0000000041E0: 923C3CFF 000000C0
	s_cmp_ge_i32 s60, s50                                      // 0000000041E8: BF03323C
	s_cselect_b32 s76, s76, 2                                  // 0000000041EC: 854C824C

00000000000041f0 <label_00FC>:
	s_mov_b32 m0, s80                                          // 0000000041F0: BEFC0050
	s_mov_b32 s66, 0                                           // 0000000041F4: BEC20080
	v_mov_b32_e32 v151, 0xff800000                             // 0000000041F8: 7F2E02FF FF800000
	s_mov_b32 s74, 0                                           // 000000004200: BECA0080
	s_mul_i32 s68, 16, s70                                     // 000000004204: 92444690
	s_mov_b32 s69, 16                                          // 000000004208: BEC50090
	s_mul_i32 s60, s2, s51                                     // 00000000420C: 923C3302
	s_mul_i32 s61, s45, s5                                     // 000000004210: 923D052D
	s_add_u32 s54, s60, s61                                    // 000000004214: 80363D3C
	s_mul_i32 s61, s3, s52                                     // 000000004218: 923D3403
	s_mov_b32 s55, s61                                         // 00000000421C: BEB7003D
	s_mul_i32 s60, 0xc0, s2                                    // 000000004220: 923C02FF 000000C0
	s_mul_i32 s60, s70, s60                                    // 000000004228: 923C3C46
	s_add_u32 s55, s60, s55                                    // 00000000422C: 8037373C
	s_mov_b32 s56, s55                                         // 000000004230: BEB80037
	s_mul_i32 s59, 0xc0, s2                                    // 000000004234: 923B02FF 000000C0
	s_add_u32 s73, 16, s59                                     // 00000000423C: 80493B90
	s_mul_i32 s62, s4, s53                                     // 000000004240: 923E3504
	s_cmp_lt_u32 s53, s70                                      // 000000004244: BF0A4635
	s_cbranch_scc0 label_0117                                  // 000000004248: BF840004
	s_lshr_b32 s62, s62, 8                                     // 00000000424C: 8F3E883E
	s_mul_i32 s62, s62, s50                                    // 000000004250: 923E323E
	s_lshl_b32 s62, s62, 2                                     // 000000004254: 8E3E823E
	s_branch label_0118                                        // 000000004258: BF820001

000000000000425c <label_0117>:
	s_lshr_b32 s62, s62, 6                                     // 00000000425C: 8F3E863E

0000000000004260 <label_0118>:
	s_mul_i32 s61, s3, s50                                     // 000000004260: 923D3203
	s_mul_i32 s61, 4, s61                                      // 000000004264: 923D3D84
	s_add_u32 s65, s61, s62                                    // 000000004268: 80413E3D
	s_mul_i32 s60, 0x300, s2                                   // 00000000426C: 923C02FF 00000300
	s_add_u32 s65, s60, s65                                    // 000000004274: 8041413C
	s_mov_b32 s71, s7                                          // 000000004278: BEC70007
	v_lshrrev_b32_e32 v28, 4, v0                               // 00000000427C: 20380084
	v_and_b32_e32 v29, 1, v28                                  // 000000004280: 263A3881
	v_lshlrev_b32_e32 v29, 1, v29                              // 000000004284: 243A3A81
	v_mul_i32_i24_e32 v29, s71, v29                            // 000000004288: 0C3A3A47
	v_and_b32_e32 v30, 2, v28                                  // 00000000428C: 263C3882
	v_lshlrev_b32_e32 v30, 5, v30                              // 000000004290: 243C3C85
	v_add_u32_e32 v29, v30, v29                                // 000000004294: 683A3B1E
	v_and_b32_e32 v28, 15, v0                                  // 000000004298: 2638008F
	v_lshlrev_b32_e32 v28, 2, v28                              // 00000000429C: 24383882
	v_add_u32_e32 v1, v28, v29                                 // 0000000042A0: 68023B1C
	s_and_b32 s60, 1, s47                                      // 0000000042A4: 863C2F81
	s_mul_i32 s60, s60, s71                                    // 0000000042A8: 923C473C
	s_mul_i32 s60, s60, 8                                      // 0000000042AC: 923C883C
	s_lshr_b32 s61, s47, 1                                     // 0000000042B0: 8F3D812F
	s_mul_i32 s61, s61, 0x80                                   // 0000000042B4: 923DFF3D 00000080
	s_add_u32 s60, s60, s61                                    // 0000000042BC: 803C3D3C
	v_add_u32_e32 v1, s60, v1                                  // 0000000042C0: 6802023C
	v_add_u32_e32 v2, s71, v1                                  // 0000000042C4: 68040247
	s_mul_i32 s60, 4, s71                                      // 0000000042C8: 923C4784
	v_add_u32_e32 v3, s60, v1                                  // 0000000042CC: 6806023C
	v_add_u32_e32 v4, s60, v2                                  // 0000000042D0: 6808043C
	v_lshrrev_b32_e32 v1, 2, v1                                // 0000000042D4: 20020282
	v_lshrrev_b32_e32 v2, 2, v2                                // 0000000042D8: 20040482
	v_lshrrev_b32_e32 v3, 2, v3                                // 0000000042DC: 20060682
	v_lshrrev_b32_e32 v4, 2, v4                                // 0000000042E0: 20080882
	s_add_u32 s12, s54, s84                                    // 0000000042E4: 800C5436
	s_addc_u32 s13, 0, s85                                     // 0000000042E8: 820D5580
	s_mul_i32 s60, s4, s6                                      // 0000000042EC: 923C0604
	s_mul_hi_u32 s61, s4, s6                                   // 0000000042F0: 963D0604
	s_and_b32 s61, s61, 0xffff                                 // 0000000042F4: 863DFF3D 0000FFFF
	s_add_u32 s12, s12, s60                                    // 0000000042FC: 800C3C0C
	s_addc_u32 s13, s13, s61                                   // 000000004300: 820D3D0D
	s_add_u32 s16, s54, s86                                    // 000000004304: 80105636
	s_addc_u32 s17, 0, s87                                     // 000000004308: 82115780
	s_mul_i32 s60, s4, s6                                      // 00000000430C: 923C0604
	s_mul_hi_u32 s61, s4, s6                                   // 000000004310: 963D0604
	s_and_b32 s61, s61, 0xffff                                 // 000000004314: 863DFF3D 0000FFFF
	s_add_u32 s16, s16, s60                                    // 00000000431C: 80103C10
	s_addc_u32 s17, s17, s61                                   // 000000004320: 82113D11
	s_add_u32 s8, s55, s82                                     // 000000004324: 80085237
	s_addc_u32 s9, 0, s83                                      // 000000004328: 82095380
	s_mul_i32 s60, s4, s53                                     // 00000000432C: 923C3504
	s_mul_hi_u32 s61, s4, s53                                  // 000000004330: 963D3504
	s_and_b32 s61, s61, 0xffff                                 // 000000004334: 863DFF3D 0000FFFF
	s_add_u32 s8, s8, s60                                      // 00000000433C: 80083C08
	s_addc_u32 s9, s9, s61                                     // 000000004340: 82093D09
	s_add_u32 s20, s56, s88                                    // 000000004344: 80145838
	s_addc_u32 s21, 0, s89                                     // 000000004348: 82155980
	s_mul_i32 s60, s4, s53                                     // 00000000434C: 923C3504
	s_mul_hi_u32 s61, s4, s53                                  // 000000004350: 963D3504
	s_and_b32 s61, s61, 0xffff                                 // 000000004354: 863DFF3D 0000FFFF
	s_add_u32 s20, s20, s60                                    // 00000000435C: 80143C14
	s_addc_u32 s21, s21, s61                                   // 000000004360: 82153D15
	v_and_b32_e32 v9, 15, v0                                   // 000000004364: 2612008F
	v_lshlrev_b32_e32 v9, 2, v9                                // 000000004368: 24121282
	v_add_u32_e32 v9, s65, v9                                  // 00000000436C: 68121241
	v_lshrrev_b32_e32 v9, 2, v9                                // 000000004370: 20121282
	v_lshrrev_b32_e32 v28, 4, v0                               // 000000004374: 20380084
	v_mul_i32_i24_e32 v5, s46, v28                             // 000000004378: 0C0A382E
	v_lshrrev_b32_e32 v5, 2, v5                                // 00000000437C: 200A0A82
	v_and_b32_e32 v28, 15, v0                                  // 000000004380: 2638008F
	v_lshlrev_b32_e32 v29, 2, v28                              // 000000004384: 243A3882
	v_add_u32_e32 v5, v29, v5                                  // 000000004388: 680A0B1D
	s_mul_i32 s60, 16, s46                                     // 00000000438C: 923C2E90
	s_mul_i32 s60, s47, s60                                    // 000000004390: 923C3C2F
	v_lshlrev_b32_e32 v5, 2, v5                                // 000000004394: 240A0A82
	v_add_u32_e32 v5, s60, v5                                  // 000000004398: 680A0A3C
	s_mul_i32 s60, 0xc0, s46                                   // 00000000439C: 923C2EFF 000000C0
	s_mul_i32 s60, s2, s60                                     // 0000000043A4: 923C3C02
	s_mul_i32 s61, s3, s5                                      // 0000000043A8: 923D0503
	s_mul_i32 s62, s4, s6                                      // 0000000043AC: 923E0604
	s_mul_i32 s62, s62, s44                                    // 0000000043B0: 923E2C3E
	s_add_u32 s60, s60, s61                                    // 0000000043B4: 803C3D3C
	s_add_u32 s60, s60, s62                                    // 0000000043B8: 803C3E3C
	v_add_u32_e32 v5, s60, v5                                  // 0000000043BC: 680A0A3C
	v_lshrrev_b32_e32 v5, 2, v5                                // 0000000043C0: 200A0A82
	v_mov_b32_e32 v6, v5                                       // 0000000043C4: 7E0C0305
	v_lshrrev_b32_e32 v28, 5, v0                               // 0000000043C8: 20380085
	v_mul_i32_i24_e32 v7, 0x100, v28                           // 0000000043CC: 0C0E38FF 00000100
	v_and_b32_e32 v28, 31, v0                                  // 0000000043D4: 2638009F
	v_add_u32_e32 v7, v28, v7                                  // 0000000043D8: 680E0F1C
	s_mul_i32 s60, s47, 0x200                                  // 0000000043DC: 923CFF2F 00000200
	v_add_u32_e32 v7, s60, v7                                  // 0000000043E4: 680E0E3C
	v_lshlrev_b32_e32 v7, 2, v7                                // 0000000043E8: 240E0E82
	v_add_u32_e32 v8, 0x200, v7                                // 0000000043EC: 68100EFF 00000200
	s_mul_i32 s60, 0x80, s65                                   // 0000000043F4: 923C41FF 00000080
	v_add_u32_e32 v7, s60, v7                                  // 0000000043FC: 680E0E3C
	v_lshrrev_b32_e32 v7, 2, v7                                // 000000004400: 200E0E82
	v_add_u32_e32 v8, s60, v8                                  // 000000004404: 6810103C
	v_lshrrev_b32_e32 v8, 2, v8                                // 000000004408: 20101082
	s_mul_i32 s60, 3, s2                                       // 00000000440C: 923C0283
	s_lshr_b32 s61, s50, 6                                     // 000000004410: 8F3D8632
	s_sub_i32 s72, s61, s60                                    // 000000004414: 81C83C3D
	s_cmp_lt_i32 s72, 3                                        // 000000004418: BF048348
	s_cselect_b32 s72, s72, 3                                  // 00000000441C: 85488348
	v_and_b32_e32 v28, 31, v0                                  // 000000004420: 2638009F
	v_lshrrev_b32_e32 v28, 1, v28                              // 000000004424: 20383881
	v_and_b32_e32 v29, 1, v28                                  // 000000004428: 263A3881
	v_lshlrev_b32_e32 v29, 4, v29                              // 00000000442C: 243A3A84
	v_and_b32_e32 v30, 2, v28                                  // 000000004430: 263C3882
	v_lshlrev_b32_e32 v30, 2, v30                              // 000000004434: 243C3C82
	v_add_u32_e32 v29, v30, v29                                // 000000004438: 683A3B1E
	v_and_b32_e32 v30, 12, v28                                 // 00000000443C: 263C388C
	v_lshrrev_b32_e32 v30, 1, v30                              // 000000004440: 203C3C81
	v_add_u32_e32 v29, v30, v29                                // 000000004444: 683A3B1E
	v_lshrrev_b32_e32 v28, 5, v0                               // 000000004448: 20380085
	v_mul_i32_i24_e32 v30, 0x80, v28                           // 00000000444C: 0C3C38FF 00000080
	v_add_u32_e32 v29, v30, v29                                // 000000004454: 683A3B1E
	v_and_b32_e32 v30, 1, v0                                   // 000000004458: 263C0081
	v_add_u32_e32 v11, v30, v29                                // 00000000445C: 68163B1E
	s_and_b32 s60, 1, s47                                      // 000000004460: 863C2F81
	s_mul_i32 s60, s60, 64                                     // 000000004464: 923CC03C
	s_lshr_b32 s61, s47, 1                                     // 000000004468: 8F3D812F
	s_mul_i32 s61, s61, 0x220                                  // 00000000446C: 923DFF3D 00000220
	s_add_u32 s60, s60, s61                                    // 000000004474: 803C3D3C
	v_add_u32_e32 v11, s60, v11                                // 000000004478: 6816163C
	v_lshlrev_b32_e32 v11, 2, v11                              // 00000000447C: 24161682
	v_lshrrev_b32_e32 v28, 4, v0                               // 000000004480: 20380084
	v_and_b32_e32 v29, 1, v28                                  // 000000004484: 263A3881
	v_lshlrev_b32_e32 v29, 4, v29                              // 000000004488: 243A3A84
	v_and_b32_e32 v30, 2, v28                                  // 00000000448C: 263C3882
	v_mul_i32_i24_e32 v30, 4, v30                              // 000000004490: 0C3C3C84
	v_add_u32_e32 v29, v30, v29                                // 000000004494: 683A3B1E
	v_and_b32_e32 v28, 15, v0                                  // 000000004498: 2638008F
	v_lshrrev_b32_e32 v30, 2, v28                              // 00000000449C: 203C3882
	v_lshlrev_b32_e32 v30, 5, v30                              // 0000000044A0: 243C3C85
	v_add_u32_e32 v29, v30, v29                                // 0000000044A4: 683A3B1E
	v_and_b32_e32 v28, 3, v0                                   // 0000000044A8: 26380083
	v_and_b32_e32 v30, 1, v28                                  // 0000000044AC: 263C3881
	v_mul_i32_i24_e32 v30, 0x108, v30                          // 0000000044B0: 0C3C3CFF 00000108
	v_add_u32_e32 v29, v30, v29                                // 0000000044B8: 683A3B1E
	v_and_b32_e32 v30, 2, v28                                  // 0000000044BC: 263C3882
	v_lshlrev_b32_e32 v30, 1, v30                              // 0000000044C0: 243C3C81
	v_add_u32_e32 v10, v30, v29                                // 0000000044C4: 68143B1E
	v_lshlrev_b32_e32 v10, 2, v10                              // 0000000044C8: 24141482
	s_mul_i32 s60, s47, 0x1100                                 // 0000000044CC: 923CFF2F 00001100
	v_add_u32_e32 v22, s60, v10                                // 0000000044D4: 682C143C
	v_lshrrev_b32_e32 v28, 5, v0                               // 0000000044D8: 20380085
	v_mul_i32_i24_e32 v13, 0x80, v28                           // 0000000044DC: 0C1A38FF 00000080
	v_and_b32_e32 v28, 31, v0                                  // 0000000044E4: 2638009F
	v_and_b32_e32 v29, 7, v28                                  // 0000000044E8: 263A3887
	v_and_b32_e32 v30, 1, v29                                  // 0000000044EC: 263C3A81
	v_lshlrev_b32_e32 v30, 2, v30                              // 0000000044F0: 243C3C82
	v_add_u32_e32 v13, v30, v13                                // 0000000044F4: 681A1B1E
	v_and_b32_e32 v30, 2, v29                                  // 0000000044F8: 263C3A82
	v_lshlrev_b32_e32 v30, 3, v30                              // 0000000044FC: 243C3C83
	v_add_u32_e32 v13, v30, v13                                // 000000004500: 681A1B1E
	v_and_b32_e32 v30, 4, v29                                  // 000000004504: 263C3A84
	v_lshlrev_b32_e32 v30, 1, v30                              // 000000004508: 243C3C81
	v_add_u32_e32 v13, v30, v13                                // 00000000450C: 681A1B1E
	v_lshrrev_b32_e32 v29, 3, v28                              // 000000004510: 203A3883
	v_and_b32_e32 v30, 1, v29                                  // 000000004514: 263C3A81
	v_lshlrev_b32_e32 v30, 1, v30                              // 000000004518: 243C3C81
	v_add_u32_e32 v13, v30, v13                                // 00000000451C: 681A1B1E
	v_and_b32_e32 v30, 2, v29                                  // 000000004520: 263C3A82
	v_lshrrev_b32_e32 v30, 1, v30                              // 000000004524: 203C3C81
	v_add_u32_e32 v13, v30, v13                                // 000000004528: 681A1B1E
	s_and_b32 s60, 1, s47                                      // 00000000452C: 863C2F81
	s_mul_i32 s60, s60, 64                                     // 000000004530: 923CC03C
	s_lshr_b32 s61, s47, 1                                     // 000000004534: 8F3D812F
	s_mul_i32 s61, s61, 0x220                                  // 000000004538: 923DFF3D 00000220
	s_add_u32 s60, s60, s61                                    // 000000004540: 803C3D3C
	v_add_u32_e32 v13, s60, v13                                // 000000004544: 681A1A3C
	v_lshlrev_b32_e32 v13, 2, v13                              // 000000004548: 241A1A82
	v_and_b32_e32 v28, 15, v0                                  // 00000000454C: 2638008F
	v_and_b32_e32 v30, 1, v28                                  // 000000004550: 263C3881
	v_mul_i32_i24_e32 v12, 0x108, v30                          // 000000004554: 0C183CFF 00000108
	v_and_b32_e32 v30, 2, v28                                  // 00000000455C: 263C3882
	v_lshlrev_b32_e32 v30, 1, v30                              // 000000004560: 243C3C81
	v_add_u32_e32 v12, v30, v12                                // 000000004564: 6818191E
	v_and_b32_e32 v30, 4, v28                                  // 000000004568: 263C3884
	v_lshlrev_b32_e32 v30, 2, v30                              // 00000000456C: 243C3C82
	v_add_u32_e32 v12, v30, v12                                // 000000004570: 6818191E
	v_and_b32_e32 v30, 8, v28                                  // 000000004574: 263C3888
	v_add_u32_e32 v12, v30, v12                                // 000000004578: 6818191E
	v_lshrrev_b32_e32 v28, 4, v0                               // 00000000457C: 20380084
	v_and_b32_e32 v30, 1, v28                                  // 000000004580: 263C3881
	v_lshlrev_b32_e32 v30, 5, v30                              // 000000004584: 243C3C85
	v_add_u32_e32 v12, v30, v12                                // 000000004588: 6818191E
	v_and_b32_e32 v29, 2, v28                                  // 00000000458C: 263A3882
	v_mul_i32_i24_e32 v30, 32, v29                             // 000000004590: 0C3C3AA0
	v_mul_i32_i24_e32 v29, 0x220, v29                          // 000000004594: 0C3A3AFF 00000220
	v_add_u32_e32 v23, v29, v12                                // 00000000459C: 682E191D
	v_add_u32_e32 v12, v30, v12                                // 0000000045A0: 6818191E
	v_lshlrev_b32_e32 v12, 2, v12                              // 0000000045A4: 24181882
	v_lshlrev_b32_e32 v23, 2, v23                              // 0000000045A8: 242E2E82
	s_and_b32 s60, 1, s47                                      // 0000000045AC: 863C2F81
	s_mul_i32 s60, s60, 0x200                                  // 0000000045B0: 923CFF3C 00000200
	s_lshr_b32 s61, s47, 1                                     // 0000000045B8: 8F3D812F
	s_mul_i32 s61, s61, 0x880                                  // 0000000045BC: 923DFF3D 00000880
	s_add_u32 s60, s60, s61                                    // 0000000045C4: 803C3D3C
	v_add_u32_e32 v23, s60, v23                                // 0000000045C8: 682E2E3C
	v_lshrrev_b32_e32 v28, 4, v0                               // 0000000045CC: 20380084
	v_mul_i32_i24_e32 v21, 4, v28                              // 0000000045D0: 0C2A3884
	v_and_b32_e32 v29, 3, v0                                   // 0000000045D4: 263A0083
	v_add_u32_e32 v21, v29, v21                                // 0000000045D8: 682A2B1D
	v_lshlrev_b32_e32 v21, 2, v21                              // 0000000045DC: 242A2A82
	v_lshrrev_b32_e32 v28, 4, v0                               // 0000000045E0: 20380084
	v_and_b32_e32 v29, 1, v28                                  // 0000000045E4: 263A3881
	v_mul_i32_i24_e32 v19, 0x100, v29                          // 0000000045E8: 0C263AFF 00000100
	v_and_b32_e32 v29, 2, v28                                  // 0000000045F0: 263A3882
	v_mul_i32_i24_e32 v29, 64, v29                             // 0000000045F4: 0C3A3AC0
	v_add_u32_e32 v19, v29, v19                                // 0000000045F8: 6826271D
	v_and_b32_e32 v28, 15, v0                                  // 0000000045FC: 2638008F
	v_mul_i32_i24_e32 v29, 2, v28                              // 000000004600: 0C3A3882
	v_add_u32_e32 v19, v29, v19                                // 000000004604: 6826271D
	s_mul_i32 s60, s47, 32                                     // 000000004608: 923CA02F
	v_add_u32_e32 v19, s60, v19                                // 00000000460C: 6826263C
	v_lshlrev_b32_e32 v19, 2, v19                              // 000000004610: 24262682
	v_lshlrev_b32_e32 v20, 1, v0                               // 000000004614: 24280081
	s_mul_i32 s60, s47, 0x200                                  // 000000004618: 923CFF2F 00000200
	v_add_u32_e32 v20, s60, v20                                // 000000004620: 6828283C
	v_lshlrev_b32_e32 v20, 2, v20                              // 000000004624: 24282882
	v_lshrrev_b32_e32 v28, 5, v0                               // 000000004628: 20380085
	v_mul_i32_i24_e32 v17, 64, v28                             // 00000000462C: 0C2238C0
	v_and_b32_e32 v28, 31, v0                                  // 000000004630: 2638009F
	v_and_b32_e32 v28, 3, v28                                  // 000000004634: 26383883
	v_and_b32_e32 v29, 1, v28                                  // 000000004638: 263A3881
	v_mul_i32_i24_e32 v29, 4, v29                              // 00000000463C: 0C3A3A84
	v_add_u32_e32 v17, v29, v17                                // 000000004640: 6822231D
	v_and_b32_e32 v29, 2, v28                                  // 000000004644: 263A3882
	v_mul_i32_i24_e32 v29, 0x44, v29                           // 000000004648: 0C3A3AFF 00000044
	v_add_u32_e32 v17, v29, v17                                // 000000004650: 6822231D
	v_and_b32_e32 v28, 31, v0                                  // 000000004654: 2638009F
	v_lshrrev_b32_e32 v28, 2, v28                              // 000000004658: 20383882
	v_lshrrev_b32_e32 v30, 2, v28                              // 00000000465C: 203C3882
	v_mul_i32_i24_e32 v29, 16, v30                             // 000000004660: 0C3A3C90
	v_add_u32_e32 v17, v29, v17                                // 000000004664: 6822231D
	v_and_b32_e32 v29, 2, v28                                  // 000000004668: 263A3882
	v_lshlrev_b32_e32 v29, 4, v29                              // 00000000466C: 243A3A84
	v_add_u32_e32 v17, v29, v17                                // 000000004670: 6822231D
	v_and_b32_e32 v29, 1, v28                                  // 000000004674: 263A3881
	v_xor_b32_e32 v29, v30, v29                                // 000000004678: 2A3A3B1E
	v_mul_i32_i24_e32 v29, 8, v29                              // 00000000467C: 0C3A3A88
	v_add_u32_e32 v17, v29, v17                                // 000000004680: 6822231D
	v_lshlrev_b32_e32 v17, 2, v17                              // 000000004684: 24222282
	v_lshrrev_b32_e32 v28, 5, v0                               // 000000004688: 20380085
	v_mul_i32_i24_e32 v18, 32, v28                             // 00000000468C: 0C2438A0
	v_and_b32_e32 v28, 31, v0                                  // 000000004690: 2638009F
	v_and_b32_e32 v28, 3, v28                                  // 000000004694: 26383883
	v_and_b32_e32 v29, 1, v28                                  // 000000004698: 263A3881
	v_mul_i32_i24_e32 v29, 4, v29                              // 00000000469C: 0C3A3A84
	v_add_u32_e32 v18, v29, v18                                // 0000000046A0: 6824251D
	v_and_b32_e32 v29, 2, v28                                  // 0000000046A4: 263A3882
	v_lshrrev_b32_e32 v29, 1, v29                              // 0000000046A8: 203A3A81
	v_add_u32_e32 v18, v29, v18                                // 0000000046AC: 6824251D
	v_and_b32_e32 v28, 31, v0                                  // 0000000046B0: 2638009F
	v_lshrrev_b32_e32 v28, 2, v28                              // 0000000046B4: 20383882
	v_and_b32_e32 v30, 1, v28                                  // 0000000046B8: 263C3881
	v_mul_i32_i24_e32 v29, 16, v30                             // 0000000046BC: 0C3A3C90
	v_add_u32_e32 v18, v29, v18                                // 0000000046C0: 6824251D
	v_and_b32_e32 v29, 2, v28                                  // 0000000046C4: 263A3882
	v_add_u32_e32 v18, v29, v18                                // 0000000046C8: 6824251D
	v_lshrrev_b32_e32 v29, 2, v28                              // 0000000046CC: 203A3882
	v_xor_b32_e32 v29, v30, v29                                // 0000000046D0: 2A3A3B1E
	v_mul_i32_i24_e32 v29, 8, v29                              // 0000000046D4: 0C3A3A88
	v_add_u32_e32 v18, v29, v18                                // 0000000046D8: 6824251D
	s_and_b32 s60, 1, s47                                      // 0000000046DC: 863C2F81
	s_mul_i32 s60, s60, 64                                     // 0000000046E0: 923CC03C
	s_lshr_b32 s61, s47, 1                                     // 0000000046E4: 8F3D812F
	s_mul_i32 s61, s61, 0x120                                  // 0000000046E8: 923DFF3D 00000120
	s_add_u32 s60, s60, s61                                    // 0000000046F0: 803C3D3C
	v_add_u32_e32 v18, s60, v18                                // 0000000046F4: 6824243C
	v_lshlrev_b32_e32 v18, 2, v18                              // 0000000046F8: 24242482
	buffer_load_dword v152, v1, s[12:15], 0 idxen              // 0000000046FC: E0502000 80039801
	buffer_load_dword v153, v2, s[12:15], 0 idxen              // 000000004704: E0502000 80039902
	buffer_load_dword v154, v3, s[12:15], 0 idxen              // 00000000470C: E0502000 80039A03
	buffer_load_dword v155, v4, s[12:15], 0 idxen              // 000000004714: E0502000 80039B04
	s_mul_i32 s60, 16, s7                                      // 00000000471C: 923C0790
	s_cmp_lt_i32 0, s72                                        // 000000004720: BF044880
	s_cselect_b32 s60, s60, 0                                  // 000000004724: 853C803C
	s_add_u32 s12, s60, s12                                    // 000000004728: 800C0C3C
	s_addc_u32 s13, 0, s13                                     // 00000000472C: 820D0D80
	buffer_load_dword v156, v1, s[12:15], 0 idxen              // 000000004730: E0502000 80039C01
	buffer_load_dword v157, v2, s[12:15], 0 idxen              // 000000004738: E0502000 80039D02
	buffer_load_dword v158, v3, s[12:15], 0 idxen              // 000000004740: E0502000 80039E03
	buffer_load_dword v159, v4, s[12:15], 0 idxen              // 000000004748: E0502000 80039F04
	s_mul_i32 s60, 16, s7                                      // 000000004750: 923C0790
	s_cmp_lt_i32 0, s72                                        // 000000004754: BF044880
	s_cselect_b32 s60, s60, 0                                  // 000000004758: 853C803C
	s_add_u32 s12, s60, s12                                    // 00000000475C: 800C0C3C
	s_addc_u32 s13, 0, s13                                     // 000000004760: 820D0D80
	buffer_load_dword v160, v1, s[12:15], 0 idxen              // 000000004764: E0502000 8003A001
	buffer_load_dword v161, v2, s[12:15], 0 idxen              // 00000000476C: E0502000 8003A102
	buffer_load_dword v162, v3, s[12:15], 0 idxen              // 000000004774: E0502000 8003A203
	buffer_load_dword v163, v4, s[12:15], 0 idxen              // 00000000477C: E0502000 8003A304
	s_mul_i32 s60, 16, s7                                      // 000000004784: 923C0790
	s_cmp_lt_i32 0, s72                                        // 000000004788: BF044880
	s_cselect_b32 s60, s60, 0                                  // 00000000478C: 853C803C
	s_add_u32 s12, s60, s12                                    // 000000004790: 800C0C3C
	s_addc_u32 s13, 0, s13                                     // 000000004794: 820D0D80
	buffer_load_dword v164, v1, s[12:15], 0 idxen              // 000000004798: E0502000 8003A401
	buffer_load_dword v165, v2, s[12:15], 0 idxen              // 0000000047A0: E0502000 8003A502
	buffer_load_dword v166, v3, s[12:15], 0 idxen              // 0000000047A8: E0502000 8003A603
	buffer_load_dword v167, v4, s[12:15], 0 idxen              // 0000000047B0: E0502000 8003A704
	s_mul_i32 s60, 16, s7                                      // 0000000047B8: 923C0790
	s_cmp_lt_i32 1, s72                                        // 0000000047BC: BF044881
	s_cselect_b32 s60, s60, 0                                  // 0000000047C0: 853C803C
	s_add_u32 s12, s60, s12                                    // 0000000047C4: 800C0C3C
	s_addc_u32 s13, 0, s13                                     // 0000000047C8: 820D0D80
	buffer_load_dword v168, v1, s[12:15], 0 idxen              // 0000000047CC: E0502000 8003A801
	buffer_load_dword v169, v2, s[12:15], 0 idxen              // 0000000047D4: E0502000 8003A902
	buffer_load_dword v170, v3, s[12:15], 0 idxen              // 0000000047DC: E0502000 8003AA03
	buffer_load_dword v171, v4, s[12:15], 0 idxen              // 0000000047E4: E0502000 8003AB04
	s_mul_i32 s60, 16, s7                                      // 0000000047EC: 923C0790
	s_cmp_lt_i32 1, s72                                        // 0000000047F0: BF044881
	s_cselect_b32 s60, s60, 0                                  // 0000000047F4: 853C803C
	s_add_u32 s12, s60, s12                                    // 0000000047F8: 800C0C3C
	s_addc_u32 s13, 0, s13                                     // 0000000047FC: 820D0D80
	buffer_load_dword v172, v1, s[12:15], 0 idxen              // 000000004800: E0502000 8003AC01
	buffer_load_dword v173, v2, s[12:15], 0 idxen              // 000000004808: E0502000 8003AD02
	buffer_load_dword v174, v3, s[12:15], 0 idxen              // 000000004810: E0502000 8003AE03
	buffer_load_dword v175, v4, s[12:15], 0 idxen              // 000000004818: E0502000 8003AF04
	s_mul_i32 s60, 16, s7                                      // 000000004820: 923C0790
	s_cmp_lt_i32 1, s72                                        // 000000004824: BF044881
	s_cselect_b32 s60, s60, 0                                  // 000000004828: 853C803C
	s_add_u32 s12, s60, s12                                    // 00000000482C: 800C0C3C
	s_addc_u32 s13, 0, s13                                     // 000000004830: 820D0D80
	buffer_load_dword v176, v1, s[12:15], 0 idxen              // 000000004834: E0502000 8003B001
	buffer_load_dword v177, v2, s[12:15], 0 idxen              // 00000000483C: E0502000 8003B102
	buffer_load_dword v178, v3, s[12:15], 0 idxen              // 000000004844: E0502000 8003B203
	buffer_load_dword v179, v4, s[12:15], 0 idxen              // 00000000484C: E0502000 8003B304
	s_mul_i32 s60, 16, s7                                      // 000000004854: 923C0790
	s_cmp_lt_i32 1, s72                                        // 000000004858: BF044881
	s_cselect_b32 s60, s60, 0                                  // 00000000485C: 853C803C
	s_add_u32 s12, s60, s12                                    // 000000004860: 800C0C3C
	s_addc_u32 s13, 0, s13                                     // 000000004864: 820D0D80
	buffer_load_dword v180, v1, s[12:15], 0 idxen              // 000000004868: E0502000 8003B401
	buffer_load_dword v181, v2, s[12:15], 0 idxen              // 000000004870: E0502000 8003B502
	buffer_load_dword v182, v3, s[12:15], 0 idxen              // 000000004878: E0502000 8003B603
	buffer_load_dword v183, v4, s[12:15], 0 idxen              // 000000004880: E0502000 8003B704
	s_mul_i32 s60, 16, s7                                      // 000000004888: 923C0790
	s_cmp_lt_i32 2, s72                                        // 00000000488C: BF044882
	s_cselect_b32 s60, s60, 0                                  // 000000004890: 853C803C
	s_add_u32 s12, s60, s12                                    // 000000004894: 800C0C3C
	s_addc_u32 s13, 0, s13                                     // 000000004898: 820D0D80
	buffer_load_dword v184, v1, s[12:15], 0 idxen              // 00000000489C: E0502000 8003B801
	buffer_load_dword v185, v2, s[12:15], 0 idxen              // 0000000048A4: E0502000 8003B902
	buffer_load_dword v186, v3, s[12:15], 0 idxen              // 0000000048AC: E0502000 8003BA03
	buffer_load_dword v187, v4, s[12:15], 0 idxen              // 0000000048B4: E0502000 8003BB04
	s_mul_i32 s60, 16, s7                                      // 0000000048BC: 923C0790
	s_cmp_lt_i32 2, s72                                        // 0000000048C0: BF044882
	s_cselect_b32 s60, s60, 0                                  // 0000000048C4: 853C803C
	s_add_u32 s12, s60, s12                                    // 0000000048C8: 800C0C3C
	s_addc_u32 s13, 0, s13                                     // 0000000048CC: 820D0D80
	buffer_load_dword v188, v1, s[12:15], 0 idxen              // 0000000048D0: E0502000 8003BC01
	buffer_load_dword v189, v2, s[12:15], 0 idxen              // 0000000048D8: E0502000 8003BD02
	buffer_load_dword v190, v3, s[12:15], 0 idxen              // 0000000048E0: E0502000 8003BE03
	buffer_load_dword v191, v4, s[12:15], 0 idxen              // 0000000048E8: E0502000 8003BF04
	s_mul_i32 s60, 16, s7                                      // 0000000048F0: 923C0790
	s_cmp_lt_i32 2, s72                                        // 0000000048F4: BF044882
	s_cselect_b32 s60, s60, 0                                  // 0000000048F8: 853C803C
	s_add_u32 s12, s60, s12                                    // 0000000048FC: 800C0C3C
	s_addc_u32 s13, 0, s13                                     // 000000004900: 820D0D80
	buffer_load_dword v192, v1, s[12:15], 0 idxen              // 000000004904: E0502000 8003C001
	buffer_load_dword v193, v2, s[12:15], 0 idxen              // 00000000490C: E0502000 8003C102
	buffer_load_dword v194, v3, s[12:15], 0 idxen              // 000000004914: E0502000 8003C203
	buffer_load_dword v195, v4, s[12:15], 0 idxen              // 00000000491C: E0502000 8003C304
	s_mul_i32 s60, 16, s7                                      // 000000004924: 923C0790
	s_cmp_lt_i32 2, s72                                        // 000000004928: BF044882
	s_cselect_b32 s60, s60, 0                                  // 00000000492C: 853C803C
	s_add_u32 s12, s60, s12                                    // 000000004930: 800C0C3C
	s_addc_u32 s13, 0, s13                                     // 000000004934: 820D0D80
	buffer_load_dword v196, v1, s[12:15], 0 idxen              // 000000004938: E0502000 8003C401
	buffer_load_dword v197, v2, s[12:15], 0 idxen              // 000000004940: E0502000 8003C502
	buffer_load_dword v198, v3, s[12:15], 0 idxen              // 000000004948: E0502000 8003C603
	buffer_load_dword v199, v4, s[12:15], 0 idxen              // 000000004950: E0502000 8003C704
	s_mul_i32 s60, 16, s7                                      // 000000004958: 923C0790
	s_cmp_lt_i32 3, s72                                        // 00000000495C: BF044883
	s_cselect_b32 s60, s60, 0                                  // 000000004960: 853C803C
	s_add_u32 s12, s60, s12                                    // 000000004964: 800C0C3C
	s_addc_u32 s13, 0, s13                                     // 000000004968: 820D0D80
	s_waitcnt vmcnt(32) lgkmcnt(0)                             // 00000000496C: BF8C8070
	s_barrier                                                  // 000000004970: BF8A0000
	s_cmp_lt_i32 0, s72                                        // 000000004974: BF044880
	s_cbranch_scc1 label_02EF                                  // 000000004978: BF850010
	v_mov_b32_e32 v152, 0                                      // 00000000497C: 7F300280
	v_mov_b32_e32 v153, 0                                      // 000000004980: 7F320280
	v_mov_b32_e32 v154, 0                                      // 000000004984: 7F340280
	v_mov_b32_e32 v155, 0                                      // 000000004988: 7F360280
	v_mov_b32_e32 v156, 0                                      // 00000000498C: 7F380280
	v_mov_b32_e32 v157, 0                                      // 000000004990: 7F3A0280
	v_mov_b32_e32 v158, 0                                      // 000000004994: 7F3C0280
	v_mov_b32_e32 v159, 0                                      // 000000004998: 7F3E0280
	v_mov_b32_e32 v160, 0                                      // 00000000499C: 7F400280
	v_mov_b32_e32 v161, 0                                      // 0000000049A0: 7F420280
	v_mov_b32_e32 v162, 0                                      // 0000000049A4: 7F440280
	v_mov_b32_e32 v163, 0                                      // 0000000049A8: 7F460280
	v_mov_b32_e32 v164, 0                                      // 0000000049AC: 7F480280
	v_mov_b32_e32 v165, 0                                      // 0000000049B0: 7F4A0280
	v_mov_b32_e32 v166, 0                                      // 0000000049B4: 7F4C0280
	v_mov_b32_e32 v167, 0                                      // 0000000049B8: 7F4E0280

00000000000049bc <label_02EF>:
	v_perm_b32 v200, v153, v152, s63                           // 0000000049BC: D1ED00C8 00FF3199
	v_perm_b32 v201, v153, v152, s64                           // 0000000049C4: D1ED00C9 01033199
	v_perm_b32 v202, v155, v154, s63                           // 0000000049CC: D1ED00CA 00FF359B
	v_perm_b32 v203, v155, v154, s64                           // 0000000049D4: D1ED00CB 0103359B
	v_perm_b32 v204, v157, v156, s63                           // 0000000049DC: D1ED00CC 00FF399D
	v_perm_b32 v205, v157, v156, s64                           // 0000000049E4: D1ED00CD 0103399D
	v_perm_b32 v206, v159, v158, s63                           // 0000000049EC: D1ED00CE 00FF3D9F
	v_perm_b32 v207, v159, v158, s64                           // 0000000049F4: D1ED00CF 01033D9F
	v_perm_b32 v208, v161, v160, s63                           // 0000000049FC: D1ED00D0 00FF41A1
	v_perm_b32 v209, v161, v160, s64                           // 000000004A04: D1ED00D1 010341A1
	v_perm_b32 v210, v163, v162, s63                           // 000000004A0C: D1ED00D2 00FF45A3
	v_perm_b32 v211, v163, v162, s64                           // 000000004A14: D1ED00D3 010345A3
	v_perm_b32 v212, v165, v164, s63                           // 000000004A1C: D1ED00D4 00FF49A5
	v_perm_b32 v213, v165, v164, s64                           // 000000004A24: D1ED00D5 010349A5
	v_perm_b32 v214, v167, v166, s63                           // 000000004A2C: D1ED00D6 00FF4DA7
	v_perm_b32 v215, v167, v166, s64                           // 000000004A34: D1ED00D7 01034DA7
	ds_write_b32 v13, v200 offset:17408                        // 000000004A3C: D81A4400 0000C80D
	ds_write_b32 v13, v201 offset:18464                        // 000000004A44: D81A4820 0000C90D
	ds_write_b32 v13, v202 offset:17536                        // 000000004A4C: D81A4480 0000CA0D
	ds_write_b32 v13, v203 offset:18592                        // 000000004A54: D81A48A0 0000CB0D
	ds_write_b32 v13, v204 offset:21760                        // 000000004A5C: D81A5500 0000CC0D
	ds_write_b32 v13, v205 offset:22816                        // 000000004A64: D81A5920 0000CD0D
	ds_write_b32 v13, v206 offset:21888                        // 000000004A6C: D81A5580 0000CE0D
	ds_write_b32 v13, v207 offset:22944                        // 000000004A74: D81A59A0 0000CF0D
	ds_write_b32 v13, v208 offset:26112                        // 000000004A7C: D81A6600 0000D00D
	ds_write_b32 v13, v209 offset:27168                        // 000000004A84: D81A6A20 0000D10D
	ds_write_b32 v13, v210 offset:26240                        // 000000004A8C: D81A6680 0000D20D
	ds_write_b32 v13, v211 offset:27296                        // 000000004A94: D81A6AA0 0000D30D
	ds_write_b32 v13, v212 offset:30464                        // 000000004A9C: D81A7700 0000D40D
	ds_write_b32 v13, v213 offset:31520                        // 000000004AA4: D81A7B20 0000D50D
	ds_write_b32 v13, v214 offset:30592                        // 000000004AAC: D81A7780 0000D60D
	ds_write_b32 v13, v215 offset:31648                        // 000000004AB4: D81A7BA0 0000D70D
	ds_write_b32 v11, v152                                     // 000000004ABC: D81A0000 0000980B
	ds_write_b32 v11, v153 offset:1056                         // 000000004AC4: D81A0420 0000990B
	ds_write_b32 v11, v154 offset:128                          // 000000004ACC: D81A0080 00009A0B
	ds_write_b32 v11, v155 offset:1184                         // 000000004AD4: D81A04A0 00009B0B
	ds_write_b32 v11, v156 offset:4352                         // 000000004ADC: D81A1100 00009C0B
	ds_write_b32 v11, v157 offset:5408                         // 000000004AE4: D81A1520 00009D0B
	ds_write_b32 v11, v158 offset:4480                         // 000000004AEC: D81A1180 00009E0B
	ds_write_b32 v11, v159 offset:5536                         // 000000004AF4: D81A15A0 00009F0B
	ds_write_b32 v11, v160 offset:8704                         // 000000004AFC: D81A2200 0000A00B
	ds_write_b32 v11, v161 offset:9760                         // 000000004B04: D81A2620 0000A10B
	ds_write_b32 v11, v162 offset:8832                         // 000000004B0C: D81A2280 0000A20B
	ds_write_b32 v11, v163 offset:9888                         // 000000004B14: D81A26A0 0000A30B
	ds_write_b32 v11, v164 offset:13056                        // 000000004B1C: D81A3300 0000A40B
	ds_write_b32 v11, v165 offset:14112                        // 000000004B24: D81A3720 0000A50B
	ds_write_b32 v11, v166 offset:13184                        // 000000004B2C: D81A3380 0000A60B
	ds_write_b32 v11, v167 offset:14240                        // 000000004B34: D81A37A0 0000A70B
	buffer_load_dword v152, v1, s[16:19], 0 idxen              // 000000004B3C: E0502000 80049801
	buffer_load_dword v153, v2, s[16:19], 0 idxen              // 000000004B44: E0502000 80049902
	buffer_load_dword v154, v3, s[16:19], 0 idxen              // 000000004B4C: E0502000 80049A03
	buffer_load_dword v155, v4, s[16:19], 0 idxen              // 000000004B54: E0502000 80049B04
	s_mul_i32 s60, 16, s7                                      // 000000004B5C: 923C0790
	s_cmp_lt_i32 0, s72                                        // 000000004B60: BF044880
	s_cselect_b32 s60, s60, 0                                  // 000000004B64: 853C803C
	s_add_u32 s16, s60, s16                                    // 000000004B68: 8010103C
	s_addc_u32 s17, 0, s17                                     // 000000004B6C: 82111180
	buffer_load_dword v156, v1, s[16:19], 0 idxen              // 000000004B70: E0502000 80049C01
	buffer_load_dword v157, v2, s[16:19], 0 idxen              // 000000004B78: E0502000 80049D02
	buffer_load_dword v158, v3, s[16:19], 0 idxen              // 000000004B80: E0502000 80049E03
	buffer_load_dword v159, v4, s[16:19], 0 idxen              // 000000004B88: E0502000 80049F04
	s_mul_i32 s60, 16, s7                                      // 000000004B90: 923C0790
	s_cmp_lt_i32 0, s72                                        // 000000004B94: BF044880
	s_cselect_b32 s60, s60, 0                                  // 000000004B98: 853C803C
	s_add_u32 s16, s60, s16                                    // 000000004B9C: 8010103C
	s_addc_u32 s17, 0, s17                                     // 000000004BA0: 82111180
	buffer_load_dword v160, v1, s[16:19], 0 idxen              // 000000004BA4: E0502000 8004A001
	buffer_load_dword v161, v2, s[16:19], 0 idxen              // 000000004BAC: E0502000 8004A102
	buffer_load_dword v162, v3, s[16:19], 0 idxen              // 000000004BB4: E0502000 8004A203
	buffer_load_dword v163, v4, s[16:19], 0 idxen              // 000000004BBC: E0502000 8004A304
	s_mul_i32 s60, 16, s7                                      // 000000004BC4: 923C0790
	s_cmp_lt_i32 0, s72                                        // 000000004BC8: BF044880
	s_cselect_b32 s60, s60, 0                                  // 000000004BCC: 853C803C
	s_add_u32 s16, s60, s16                                    // 000000004BD0: 8010103C
	s_addc_u32 s17, 0, s17                                     // 000000004BD4: 82111180
	buffer_load_dword v164, v1, s[16:19], 0 idxen              // 000000004BD8: E0502000 8004A401
	buffer_load_dword v165, v2, s[16:19], 0 idxen              // 000000004BE0: E0502000 8004A502
	buffer_load_dword v166, v3, s[16:19], 0 idxen              // 000000004BE8: E0502000 8004A603
	buffer_load_dword v167, v4, s[16:19], 0 idxen              // 000000004BF0: E0502000 8004A704
	s_mul_i32 s60, 16, s7                                      // 000000004BF8: 923C0790
	s_cmp_lt_i32 1, s72                                        // 000000004BFC: BF044881
	s_cselect_b32 s60, s60, 0                                  // 000000004C00: 853C803C
	s_add_u32 s16, s60, s16                                    // 000000004C04: 8010103C
	s_addc_u32 s17, 0, s17                                     // 000000004C08: 82111180
	s_waitcnt lgkmcnt(0)                                       // 000000004C0C: BF8CC07F
	s_barrier                                                  // 000000004C10: BF8A0000
	ds_read_b128 a[48:51], v23 offset:17408                    // 000000004C14: DBFE4400 30000017
	ds_read_b128 a[52:55], v23 offset:17664                    // 000000004C1C: DBFE4500 34000017
	ds_read_b128 a[56:59], v23 offset:26112                    // 000000004C24: DBFE6600 38000017
	ds_read_b128 a[60:63], v23 offset:26368                    // 000000004C2C: DBFE6700 3C000017
	ds_read_b128 a[0:3], v22                                   // 000000004C34: DBFE0000 00000016
	ds_read_b128 a[4:7], v22 offset:512                        // 000000004C3C: DBFE0200 04000016
	ds_read_b128 a[8:11], v22 offset:2176                      // 000000004C44: DBFE0880 08000016
	ds_read_b128 a[12:15], v22 offset:2688                     // 000000004C4C: DBFE0A80 0C000016
	s_waitcnt vmcnt(32) lgkmcnt(0)                             // 000000004C54: BF8C8070
	s_barrier                                                  // 000000004C58: BF8A0000
	s_cmp_lt_i32 1, s72                                        // 000000004C5C: BF044881
	s_cbranch_scc1 label_03A9                                  // 000000004C60: BF850010
	v_mov_b32_e32 v168, 0                                      // 000000004C64: 7F500280
	v_mov_b32_e32 v169, 0                                      // 000000004C68: 7F520280
	v_mov_b32_e32 v170, 0                                      // 000000004C6C: 7F540280
	v_mov_b32_e32 v171, 0                                      // 000000004C70: 7F560280
	v_mov_b32_e32 v172, 0                                      // 000000004C74: 7F580280
	v_mov_b32_e32 v173, 0                                      // 000000004C78: 7F5A0280
	v_mov_b32_e32 v174, 0                                      // 000000004C7C: 7F5C0280
	v_mov_b32_e32 v175, 0                                      // 000000004C80: 7F5E0280
	v_mov_b32_e32 v176, 0                                      // 000000004C84: 7F600280
	v_mov_b32_e32 v177, 0                                      // 000000004C88: 7F620280
	v_mov_b32_e32 v178, 0                                      // 000000004C8C: 7F640280
	v_mov_b32_e32 v179, 0                                      // 000000004C90: 7F660280
	v_mov_b32_e32 v180, 0                                      // 000000004C94: 7F680280
	v_mov_b32_e32 v181, 0                                      // 000000004C98: 7F6A0280
	v_mov_b32_e32 v182, 0                                      // 000000004C9C: 7F6C0280
	v_mov_b32_e32 v183, 0                                      // 000000004CA0: 7F6E0280

0000000000004ca4 <label_03A9>:
	v_perm_b32 v200, v169, v168, s63                           // 000000004CA4: D1ED00C8 00FF51A9
	v_perm_b32 v201, v169, v168, s64                           // 000000004CAC: D1ED00C9 010351A9
	v_perm_b32 v202, v171, v170, s63                           // 000000004CB4: D1ED00CA 00FF55AB
	v_perm_b32 v203, v171, v170, s64                           // 000000004CBC: D1ED00CB 010355AB
	v_perm_b32 v204, v173, v172, s63                           // 000000004CC4: D1ED00CC 00FF59AD
	v_perm_b32 v205, v173, v172, s64                           // 000000004CCC: D1ED00CD 010359AD
	v_perm_b32 v206, v175, v174, s63                           // 000000004CD4: D1ED00CE 00FF5DAF
	v_perm_b32 v207, v175, v174, s64                           // 000000004CDC: D1ED00CF 01035DAF
	v_perm_b32 v208, v177, v176, s63                           // 000000004CE4: D1ED00D0 00FF61B1
	v_perm_b32 v209, v177, v176, s64                           // 000000004CEC: D1ED00D1 010361B1
	v_perm_b32 v210, v179, v178, s63                           // 000000004CF4: D1ED00D2 00FF65B3
	v_perm_b32 v211, v179, v178, s64                           // 000000004CFC: D1ED00D3 010365B3
	v_perm_b32 v212, v181, v180, s63                           // 000000004D04: D1ED00D4 00FF69B5
	v_perm_b32 v213, v181, v180, s64                           // 000000004D0C: D1ED00D5 010369B5
	v_perm_b32 v214, v183, v182, s63                           // 000000004D14: D1ED00D6 00FF6DB7
	v_perm_b32 v215, v183, v182, s64                           // 000000004D1C: D1ED00D7 01036DB7
	ds_write_b32 v13, v200 offset:17408                        // 000000004D24: D81A4400 0000C80D
	ds_write_b32 v13, v201 offset:18464                        // 000000004D2C: D81A4820 0000C90D
	ds_write_b32 v13, v202 offset:17536                        // 000000004D34: D81A4480 0000CA0D
	ds_write_b32 v13, v203 offset:18592                        // 000000004D3C: D81A48A0 0000CB0D
	ds_write_b32 v13, v204 offset:21760                        // 000000004D44: D81A5500 0000CC0D
	ds_write_b32 v13, v205 offset:22816                        // 000000004D4C: D81A5920 0000CD0D
	ds_write_b32 v13, v206 offset:21888                        // 000000004D54: D81A5580 0000CE0D
	ds_write_b32 v13, v207 offset:22944                        // 000000004D5C: D81A59A0 0000CF0D
	ds_write_b32 v13, v208 offset:26112                        // 000000004D64: D81A6600 0000D00D
	ds_write_b32 v13, v209 offset:27168                        // 000000004D6C: D81A6A20 0000D10D
	ds_write_b32 v13, v210 offset:26240                        // 000000004D74: D81A6680 0000D20D
	ds_write_b32 v13, v211 offset:27296                        // 000000004D7C: D81A6AA0 0000D30D
	ds_write_b32 v13, v212 offset:30464                        // 000000004D84: D81A7700 0000D40D
	ds_write_b32 v13, v213 offset:31520                        // 000000004D8C: D81A7B20 0000D50D
	ds_write_b32 v13, v214 offset:30592                        // 000000004D94: D81A7780 0000D60D
	ds_write_b32 v13, v215 offset:31648                        // 000000004D9C: D81A7BA0 0000D70D
	ds_write_b32 v11, v168                                     // 000000004DA4: D81A0000 0000A80B
	ds_write_b32 v11, v169 offset:1056                         // 000000004DAC: D81A0420 0000A90B
	ds_write_b32 v11, v170 offset:128                          // 000000004DB4: D81A0080 0000AA0B
	ds_write_b32 v11, v171 offset:1184                         // 000000004DBC: D81A04A0 0000AB0B
	ds_write_b32 v11, v172 offset:4352                         // 000000004DC4: D81A1100 0000AC0B
	ds_write_b32 v11, v173 offset:5408                         // 000000004DCC: D81A1520 0000AD0B
	ds_write_b32 v11, v174 offset:4480                         // 000000004DD4: D81A1180 0000AE0B
	ds_write_b32 v11, v175 offset:5536                         // 000000004DDC: D81A15A0 0000AF0B
	ds_write_b32 v11, v176 offset:8704                         // 000000004DE4: D81A2200 0000B00B
	ds_write_b32 v11, v177 offset:9760                         // 000000004DEC: D81A2620 0000B10B
	ds_write_b32 v11, v178 offset:8832                         // 000000004DF4: D81A2280 0000B20B
	ds_write_b32 v11, v179 offset:9888                         // 000000004DFC: D81A26A0 0000B30B
	ds_write_b32 v11, v180 offset:13056                        // 000000004E04: D81A3300 0000B40B
	ds_write_b32 v11, v181 offset:14112                        // 000000004E0C: D81A3720 0000B50B
	ds_write_b32 v11, v182 offset:13184                        // 000000004E14: D81A3380 0000B60B
	ds_write_b32 v11, v183 offset:14240                        // 000000004E1C: D81A37A0 0000B70B
	buffer_load_dword v168, v1, s[16:19], 0 idxen              // 000000004E24: E0502000 8004A801
	buffer_load_dword v169, v2, s[16:19], 0 idxen              // 000000004E2C: E0502000 8004A902
	buffer_load_dword v170, v3, s[16:19], 0 idxen              // 000000004E34: E0502000 8004AA03
	buffer_load_dword v171, v4, s[16:19], 0 idxen              // 000000004E3C: E0502000 8004AB04
	s_mul_i32 s60, 16, s7                                      // 000000004E44: 923C0790
	s_cmp_lt_i32 1, s72                                        // 000000004E48: BF044881
	s_cselect_b32 s60, s60, 0                                  // 000000004E4C: 853C803C
	s_add_u32 s16, s60, s16                                    // 000000004E50: 8010103C
	s_addc_u32 s17, 0, s17                                     // 000000004E54: 82111180
	buffer_load_dword v172, v1, s[16:19], 0 idxen              // 000000004E58: E0502000 8004AC01
	buffer_load_dword v173, v2, s[16:19], 0 idxen              // 000000004E60: E0502000 8004AD02
	buffer_load_dword v174, v3, s[16:19], 0 idxen              // 000000004E68: E0502000 8004AE03
	buffer_load_dword v175, v4, s[16:19], 0 idxen              // 000000004E70: E0502000 8004AF04
	s_mul_i32 s60, 16, s7                                      // 000000004E78: 923C0790
	s_cmp_lt_i32 1, s72                                        // 000000004E7C: BF044881
	s_cselect_b32 s60, s60, 0                                  // 000000004E80: 853C803C
	s_add_u32 s16, s60, s16                                    // 000000004E84: 8010103C
	s_addc_u32 s17, 0, s17                                     // 000000004E88: 82111180
	buffer_load_dword v176, v1, s[16:19], 0 idxen              // 000000004E8C: E0502000 8004B001
	buffer_load_dword v177, v2, s[16:19], 0 idxen              // 000000004E94: E0502000 8004B102
	buffer_load_dword v178, v3, s[16:19], 0 idxen              // 000000004E9C: E0502000 8004B203
	buffer_load_dword v179, v4, s[16:19], 0 idxen              // 000000004EA4: E0502000 8004B304
	s_mul_i32 s60, 16, s7                                      // 000000004EAC: 923C0790
	s_cmp_lt_i32 1, s72                                        // 000000004EB0: BF044881
	s_cselect_b32 s60, s60, 0                                  // 000000004EB4: 853C803C
	s_add_u32 s16, s60, s16                                    // 000000004EB8: 8010103C
	s_addc_u32 s17, 0, s17                                     // 000000004EBC: 82111180
	buffer_load_dword v180, v1, s[16:19], 0 idxen              // 000000004EC0: E0502000 8004B401
	buffer_load_dword v181, v2, s[16:19], 0 idxen              // 000000004EC8: E0502000 8004B502
	buffer_load_dword v182, v3, s[16:19], 0 idxen              // 000000004ED0: E0502000 8004B603
	buffer_load_dword v183, v4, s[16:19], 0 idxen              // 000000004ED8: E0502000 8004B704
	s_mul_i32 s60, 16, s7                                      // 000000004EE0: 923C0790
	s_cmp_lt_i32 2, s72                                        // 000000004EE4: BF044882
	s_cselect_b32 s60, s60, 0                                  // 000000004EE8: 853C803C
	s_add_u32 s16, s60, s16                                    // 000000004EEC: 8010103C
	s_addc_u32 s17, 0, s17                                     // 000000004EF0: 82111180
	s_waitcnt lgkmcnt(0)                                       // 000000004EF4: BF8CC07F
	s_barrier                                                  // 000000004EF8: BF8A0000
	ds_read_b128 a[64:67], v23 offset:17408                    // 000000004EFC: DBFE4400 40000017
	ds_read_b128 a[68:71], v23 offset:17664                    // 000000004F04: DBFE4500 44000017
	ds_read_b128 a[72:75], v23 offset:26112                    // 000000004F0C: DBFE6600 48000017
	ds_read_b128 a[76:79], v23 offset:26368                    // 000000004F14: DBFE6700 4C000017
	ds_read_b128 a[16:19], v22                                 // 000000004F1C: DBFE0000 10000016
	ds_read_b128 a[20:23], v22 offset:512                      // 000000004F24: DBFE0200 14000016
	ds_read_b128 a[24:27], v22 offset:2176                     // 000000004F2C: DBFE0880 18000016
	ds_read_b128 a[28:31], v22 offset:2688                     // 000000004F34: DBFE0A80 1C000016
	s_waitcnt vmcnt(32) lgkmcnt(0)                             // 000000004F3C: BF8C8070
	s_barrier                                                  // 000000004F40: BF8A0000
	s_cmp_lt_i32 2, s72                                        // 000000004F44: BF044882
	s_cbranch_scc1 label_0463                                  // 000000004F48: BF850010
	v_mov_b32_e32 v184, 0                                      // 000000004F4C: 7F700280
	v_mov_b32_e32 v185, 0                                      // 000000004F50: 7F720280
	v_mov_b32_e32 v186, 0                                      // 000000004F54: 7F740280
	v_mov_b32_e32 v187, 0                                      // 000000004F58: 7F760280
	v_mov_b32_e32 v188, 0                                      // 000000004F5C: 7F780280
	v_mov_b32_e32 v189, 0                                      // 000000004F60: 7F7A0280
	v_mov_b32_e32 v190, 0                                      // 000000004F64: 7F7C0280
	v_mov_b32_e32 v191, 0                                      // 000000004F68: 7F7E0280
	v_mov_b32_e32 v192, 0                                      // 000000004F6C: 7F800280
	v_mov_b32_e32 v193, 0                                      // 000000004F70: 7F820280
	v_mov_b32_e32 v194, 0                                      // 000000004F74: 7F840280
	v_mov_b32_e32 v195, 0                                      // 000000004F78: 7F860280
	v_mov_b32_e32 v196, 0                                      // 000000004F7C: 7F880280
	v_mov_b32_e32 v197, 0                                      // 000000004F80: 7F8A0280
	v_mov_b32_e32 v198, 0                                      // 000000004F84: 7F8C0280
	v_mov_b32_e32 v199, 0                                      // 000000004F88: 7F8E0280

0000000000004f8c <label_0463>:
	v_perm_b32 v200, v185, v184, s63                           // 000000004F8C: D1ED00C8 00FF71B9
	v_perm_b32 v201, v185, v184, s64                           // 000000004F94: D1ED00C9 010371B9
	v_perm_b32 v202, v187, v186, s63                           // 000000004F9C: D1ED00CA 00FF75BB
	v_perm_b32 v203, v187, v186, s64                           // 000000004FA4: D1ED00CB 010375BB
	v_perm_b32 v204, v189, v188, s63                           // 000000004FAC: D1ED00CC 00FF79BD
	v_perm_b32 v205, v189, v188, s64                           // 000000004FB4: D1ED00CD 010379BD
	v_perm_b32 v206, v191, v190, s63                           // 000000004FBC: D1ED00CE 00FF7DBF
	v_perm_b32 v207, v191, v190, s64                           // 000000004FC4: D1ED00CF 01037DBF
	v_perm_b32 v208, v193, v192, s63                           // 000000004FCC: D1ED00D0 00FF81C1
	v_perm_b32 v209, v193, v192, s64                           // 000000004FD4: D1ED00D1 010381C1
	v_perm_b32 v210, v195, v194, s63                           // 000000004FDC: D1ED00D2 00FF85C3
	v_perm_b32 v211, v195, v194, s64                           // 000000004FE4: D1ED00D3 010385C3
	v_perm_b32 v212, v197, v196, s63                           // 000000004FEC: D1ED00D4 00FF89C5
	v_perm_b32 v213, v197, v196, s64                           // 000000004FF4: D1ED00D5 010389C5
	v_perm_b32 v214, v199, v198, s63                           // 000000004FFC: D1ED00D6 00FF8DC7
	v_perm_b32 v215, v199, v198, s64                           // 000000005004: D1ED00D7 01038DC7
	ds_write_b32 v13, v200 offset:17408                        // 00000000500C: D81A4400 0000C80D
	ds_write_b32 v13, v201 offset:18464                        // 000000005014: D81A4820 0000C90D
	ds_write_b32 v13, v202 offset:17536                        // 00000000501C: D81A4480 0000CA0D
	ds_write_b32 v13, v203 offset:18592                        // 000000005024: D81A48A0 0000CB0D
	ds_write_b32 v13, v204 offset:21760                        // 00000000502C: D81A5500 0000CC0D
	ds_write_b32 v13, v205 offset:22816                        // 000000005034: D81A5920 0000CD0D
	ds_write_b32 v13, v206 offset:21888                        // 00000000503C: D81A5580 0000CE0D
	ds_write_b32 v13, v207 offset:22944                        // 000000005044: D81A59A0 0000CF0D
	ds_write_b32 v13, v208 offset:26112                        // 00000000504C: D81A6600 0000D00D
	ds_write_b32 v13, v209 offset:27168                        // 000000005054: D81A6A20 0000D10D
	ds_write_b32 v13, v210 offset:26240                        // 00000000505C: D81A6680 0000D20D
	ds_write_b32 v13, v211 offset:27296                        // 000000005064: D81A6AA0 0000D30D
	ds_write_b32 v13, v212 offset:30464                        // 00000000506C: D81A7700 0000D40D
	ds_write_b32 v13, v213 offset:31520                        // 000000005074: D81A7B20 0000D50D
	ds_write_b32 v13, v214 offset:30592                        // 00000000507C: D81A7780 0000D60D
	ds_write_b32 v13, v215 offset:31648                        // 000000005084: D81A7BA0 0000D70D
	ds_write_b32 v11, v184                                     // 00000000508C: D81A0000 0000B80B
	ds_write_b32 v11, v185 offset:1056                         // 000000005094: D81A0420 0000B90B
	ds_write_b32 v11, v186 offset:128                          // 00000000509C: D81A0080 0000BA0B
	ds_write_b32 v11, v187 offset:1184                         // 0000000050A4: D81A04A0 0000BB0B
	ds_write_b32 v11, v188 offset:4352                         // 0000000050AC: D81A1100 0000BC0B
	ds_write_b32 v11, v189 offset:5408                         // 0000000050B4: D81A1520 0000BD0B
	ds_write_b32 v11, v190 offset:4480                         // 0000000050BC: D81A1180 0000BE0B
	ds_write_b32 v11, v191 offset:5536                         // 0000000050C4: D81A15A0 0000BF0B
	ds_write_b32 v11, v192 offset:8704                         // 0000000050CC: D81A2200 0000C00B
	ds_write_b32 v11, v193 offset:9760                         // 0000000050D4: D81A2620 0000C10B
	ds_write_b32 v11, v194 offset:8832                         // 0000000050DC: D81A2280 0000C20B
	ds_write_b32 v11, v195 offset:9888                         // 0000000050E4: D81A26A0 0000C30B
	ds_write_b32 v11, v196 offset:13056                        // 0000000050EC: D81A3300 0000C40B
	ds_write_b32 v11, v197 offset:14112                        // 0000000050F4: D81A3720 0000C50B
	ds_write_b32 v11, v198 offset:13184                        // 0000000050FC: D81A3380 0000C60B
	ds_write_b32 v11, v199 offset:14240                        // 000000005104: D81A37A0 0000C70B
	buffer_load_dword v184, v1, s[16:19], 0 idxen              // 00000000510C: E0502000 8004B801
	buffer_load_dword v185, v2, s[16:19], 0 idxen              // 000000005114: E0502000 8004B902
	buffer_load_dword v186, v3, s[16:19], 0 idxen              // 00000000511C: E0502000 8004BA03
	buffer_load_dword v187, v4, s[16:19], 0 idxen              // 000000005124: E0502000 8004BB04
	s_mul_i32 s60, 16, s7                                      // 00000000512C: 923C0790
	s_cmp_lt_i32 2, s72                                        // 000000005130: BF044882
	s_cselect_b32 s60, s60, 0                                  // 000000005134: 853C803C
	s_add_u32 s16, s60, s16                                    // 000000005138: 8010103C
	s_addc_u32 s17, 0, s17                                     // 00000000513C: 82111180
	buffer_load_dword v188, v1, s[16:19], 0 idxen              // 000000005140: E0502000 8004BC01
	buffer_load_dword v189, v2, s[16:19], 0 idxen              // 000000005148: E0502000 8004BD02
	buffer_load_dword v190, v3, s[16:19], 0 idxen              // 000000005150: E0502000 8004BE03
	buffer_load_dword v191, v4, s[16:19], 0 idxen              // 000000005158: E0502000 8004BF04
	s_mul_i32 s60, 16, s7                                      // 000000005160: 923C0790
	s_cmp_lt_i32 2, s72                                        // 000000005164: BF044882
	s_cselect_b32 s60, s60, 0                                  // 000000005168: 853C803C
	s_add_u32 s16, s60, s16                                    // 00000000516C: 8010103C
	s_addc_u32 s17, 0, s17                                     // 000000005170: 82111180
	buffer_load_dword v192, v1, s[16:19], 0 idxen              // 000000005174: E0502000 8004C001
	buffer_load_dword v193, v2, s[16:19], 0 idxen              // 00000000517C: E0502000 8004C102
	buffer_load_dword v194, v3, s[16:19], 0 idxen              // 000000005184: E0502000 8004C203
	buffer_load_dword v195, v4, s[16:19], 0 idxen              // 00000000518C: E0502000 8004C304
	s_mul_i32 s60, 16, s7                                      // 000000005194: 923C0790
	s_cmp_lt_i32 2, s72                                        // 000000005198: BF044882
	s_cselect_b32 s60, s60, 0                                  // 00000000519C: 853C803C
	s_add_u32 s16, s60, s16                                    // 0000000051A0: 8010103C
	s_addc_u32 s17, 0, s17                                     // 0000000051A4: 82111180
	buffer_load_dword v196, v1, s[16:19], 0 idxen              // 0000000051A8: E0502000 8004C401
	buffer_load_dword v197, v2, s[16:19], 0 idxen              // 0000000051B0: E0502000 8004C502
	buffer_load_dword v198, v3, s[16:19], 0 idxen              // 0000000051B8: E0502000 8004C603
	buffer_load_dword v199, v4, s[16:19], 0 idxen              // 0000000051C0: E0502000 8004C704
	s_mul_i32 s60, 16, s7                                      // 0000000051C8: 923C0790
	s_cmp_lt_i32 3, s72                                        // 0000000051CC: BF044883
	s_cselect_b32 s60, s60, 0                                  // 0000000051D0: 853C803C
	s_add_u32 s16, s60, s16                                    // 0000000051D4: 8010103C
	s_addc_u32 s17, 0, s17                                     // 0000000051D8: 82111180
	s_waitcnt lgkmcnt(0)                                       // 0000000051DC: BF8CC07F
	s_barrier                                                  // 0000000051E0: BF8A0000
	ds_read_b128 a[80:83], v23 offset:17408                    // 0000000051E4: DBFE4400 50000017
	ds_read_b128 a[84:87], v23 offset:17664                    // 0000000051EC: DBFE4500 54000017
	ds_read_b128 a[88:91], v23 offset:26112                    // 0000000051F4: DBFE6600 58000017
	ds_read_b128 a[92:95], v23 offset:26368                    // 0000000051FC: DBFE6700 5C000017
	ds_read_b128 a[32:35], v22                                 // 000000005204: DBFE0000 20000016
	ds_read_b128 a[36:39], v22 offset:512                      // 00000000520C: DBFE0200 24000016
	ds_read_b128 a[40:43], v22 offset:2176                     // 000000005214: DBFE0880 28000016
	ds_read_b128 a[44:47], v22 offset:2688                     // 00000000521C: DBFE0A80 2C000016
	s_waitcnt vmcnt(32) lgkmcnt(0)                             // 000000005224: BF8C8070
	s_barrier                                                  // 000000005228: BF8A0000
	s_cmp_lt_i32 0, s72                                        // 00000000522C: BF044880
	s_cbranch_scc1 label_051D                                  // 000000005230: BF850010
	v_mov_b32_e32 v152, 0                                      // 000000005234: 7F300280
	v_mov_b32_e32 v153, 0                                      // 000000005238: 7F320280
	v_mov_b32_e32 v154, 0                                      // 00000000523C: 7F340280
	v_mov_b32_e32 v155, 0                                      // 000000005240: 7F360280
	v_mov_b32_e32 v156, 0                                      // 000000005244: 7F380280
	v_mov_b32_e32 v157, 0                                      // 000000005248: 7F3A0280
	v_mov_b32_e32 v158, 0                                      // 00000000524C: 7F3C0280
	v_mov_b32_e32 v159, 0                                      // 000000005250: 7F3E0280
	v_mov_b32_e32 v160, 0                                      // 000000005254: 7F400280
	v_mov_b32_e32 v161, 0                                      // 000000005258: 7F420280
	v_mov_b32_e32 v162, 0                                      // 00000000525C: 7F440280
	v_mov_b32_e32 v163, 0                                      // 000000005260: 7F460280
	v_mov_b32_e32 v164, 0                                      // 000000005264: 7F480280
	v_mov_b32_e32 v165, 0                                      // 000000005268: 7F4A0280
	v_mov_b32_e32 v166, 0                                      // 00000000526C: 7F4C0280
	v_mov_b32_e32 v167, 0                                      // 000000005270: 7F4E0280

0000000000005274 <label_051D>:
	ds_write_b32 v11, v152                                     // 000000005274: D81A0000 0000980B
	ds_write_b32 v11, v153 offset:1056                         // 00000000527C: D81A0420 0000990B
	ds_write_b32 v11, v154 offset:128                          // 000000005284: D81A0080 00009A0B
	ds_write_b32 v11, v155 offset:1184                         // 00000000528C: D81A04A0 00009B0B
	ds_write_b32 v11, v156 offset:4352                         // 000000005294: D81A1100 00009C0B
	ds_write_b32 v11, v157 offset:5408                         // 00000000529C: D81A1520 00009D0B
	ds_write_b32 v11, v158 offset:4480                         // 0000000052A4: D81A1180 00009E0B
	ds_write_b32 v11, v159 offset:5536                         // 0000000052AC: D81A15A0 00009F0B
	ds_write_b32 v11, v160 offset:8704                         // 0000000052B4: D81A2200 0000A00B
	ds_write_b32 v11, v161 offset:9760                         // 0000000052BC: D81A2620 0000A10B
	ds_write_b32 v11, v162 offset:8832                         // 0000000052C4: D81A2280 0000A20B
	ds_write_b32 v11, v163 offset:9888                         // 0000000052CC: D81A26A0 0000A30B
	ds_write_b32 v11, v164 offset:13056                        // 0000000052D4: D81A3300 0000A40B
	ds_write_b32 v11, v165 offset:14112                        // 0000000052DC: D81A3720 0000A50B
	ds_write_b32 v11, v166 offset:13184                        // 0000000052E4: D81A3380 0000A60B
	ds_write_b32 v11, v167 offset:14240                        // 0000000052EC: D81A37A0 0000A70B
	s_mov_b32 s71, s70                                         // 0000000052F4: BEC70046
	v_lshrrev_b32_e32 v28, 4, v0                               // 0000000052F8: 20380084
	v_and_b32_e32 v29, 1, v28                                  // 0000000052FC: 263A3881
	v_lshlrev_b32_e32 v29, 1, v29                              // 000000005300: 243A3A81
	v_mul_i32_i24_e32 v29, s71, v29                            // 000000005304: 0C3A3A47
	v_and_b32_e32 v30, 2, v28                                  // 000000005308: 263C3882
	v_lshlrev_b32_e32 v30, 5, v30                              // 00000000530C: 243C3C85
	v_add_u32_e32 v29, v30, v29                                // 000000005310: 683A3B1E
	v_and_b32_e32 v28, 15, v0                                  // 000000005314: 2638008F
	v_lshlrev_b32_e32 v28, 2, v28                              // 000000005318: 24383882
	v_add_u32_e32 v1, v28, v29                                 // 00000000531C: 68023B1C
	s_and_b32 s60, 1, s47                                      // 000000005320: 863C2F81
	s_mul_i32 s60, s60, s71                                    // 000000005324: 923C473C
	s_mul_i32 s60, s60, 8                                      // 000000005328: 923C883C
	s_lshr_b32 s61, s47, 1                                     // 00000000532C: 8F3D812F
	s_mul_i32 s61, s61, 0x80                                   // 000000005330: 923DFF3D 00000080
	s_add_u32 s60, s60, s61                                    // 000000005338: 803C3D3C
	v_add_u32_e32 v1, s60, v1                                  // 00000000533C: 6802023C
	v_add_u32_e32 v2, s71, v1                                  // 000000005340: 68040247
	s_mul_i32 s60, 4, s71                                      // 000000005344: 923C4784
	v_add_u32_e32 v3, s60, v1                                  // 000000005348: 6806023C
	v_add_u32_e32 v4, s60, v2                                  // 00000000534C: 6808043C
	v_lshrrev_b32_e32 v1, 2, v1                                // 000000005350: 20020282
	v_lshrrev_b32_e32 v2, 2, v2                                // 000000005354: 20040482
	;; [unrolled: 1-line block ×3, first 2 shown]
	v_lshrrev_b32_e32 v4, 2, v4                                // 00000000535C: 20080882
	buffer_load_dword v32, v1, s[8:11], 0 idxen                // 000000005360: E0502000 80022001
	buffer_load_dword v33, v2, s[8:11], 0 idxen                // 000000005368: E0502000 80022102
	;; [unrolled: 1-line block ×4, first 2 shown]
	buffer_load_dword v40, v1, s[20:23], 0 idxen               // 000000005380: E0502000 80052801
	buffer_load_dword v41, v2, s[20:23], 0 idxen               // 000000005388: E0502000 80052902
	buffer_load_dword v42, v3, s[20:23], 0 idxen               // 000000005390: E0502000 80052A03
	buffer_load_dword v43, v4, s[20:23], 0 idxen               // 000000005398: E0502000 80052B04
	s_waitcnt lgkmcnt(0)                                       // 0000000053A0: BF8CC07F
	s_barrier                                                  // 0000000053A4: BF8A0000
	ds_read_b128 a[96:99], v22                                 // 0000000053A8: DBFE0000 60000016
	ds_read_b128 a[100:103], v22 offset:512                    // 0000000053B0: DBFE0200 64000016
	ds_read_b128 a[104:107], v22 offset:2176                   // 0000000053B8: DBFE0880 68000016
	ds_read_b128 a[108:111], v22 offset:2688                   // 0000000053C0: DBFE0A80 6C000016
	s_add_u32 s8, s68, s8                                      // 0000000053C8: 80080844
	s_addc_u32 s9, 0, s9                                       // 0000000053CC: 82090980
	s_add_u32 s20, s68, s20                                    // 0000000053D0: 80141444
	s_addc_u32 s21, 0, s21                                     // 0000000053D4: 82151580
	s_waitcnt vmcnt(24) lgkmcnt(0)                             // 0000000053D8: BF8C4078
	s_barrier                                                  // 0000000053DC: BF8A0000
	s_cmp_lt_i32 1, s72                                        // 0000000053E0: BF044881
	s_cbranch_scc1 label_058A                                  // 0000000053E4: BF850010
	v_mov_b32_e32 v168, 0                                      // 0000000053E8: 7F500280
	v_mov_b32_e32 v169, 0                                      // 0000000053EC: 7F520280
	v_mov_b32_e32 v170, 0                                      // 0000000053F0: 7F540280
	v_mov_b32_e32 v171, 0                                      // 0000000053F4: 7F560280
	v_mov_b32_e32 v172, 0                                      // 0000000053F8: 7F580280
	v_mov_b32_e32 v173, 0                                      // 0000000053FC: 7F5A0280
	v_mov_b32_e32 v174, 0                                      // 000000005400: 7F5C0280
	v_mov_b32_e32 v175, 0                                      // 000000005404: 7F5E0280
	v_mov_b32_e32 v176, 0                                      // 000000005408: 7F600280
	v_mov_b32_e32 v177, 0                                      // 00000000540C: 7F620280
	v_mov_b32_e32 v178, 0                                      // 000000005410: 7F640280
	v_mov_b32_e32 v179, 0                                      // 000000005414: 7F660280
	v_mov_b32_e32 v180, 0                                      // 000000005418: 7F680280
	v_mov_b32_e32 v181, 0                                      // 00000000541C: 7F6A0280
	v_mov_b32_e32 v182, 0                                      // 000000005420: 7F6C0280
	v_mov_b32_e32 v183, 0                                      // 000000005424: 7F6E0280

0000000000005428 <label_058A>:
	ds_write_b32 v11, v168                                     // 000000005428: D81A0000 0000A80B
	ds_write_b32 v11, v169 offset:1056                         // 000000005430: D81A0420 0000A90B
	ds_write_b32 v11, v170 offset:128                          // 000000005438: D81A0080 0000AA0B
	ds_write_b32 v11, v171 offset:1184                         // 000000005440: D81A04A0 0000AB0B
	ds_write_b32 v11, v172 offset:4352                         // 000000005448: D81A1100 0000AC0B
	ds_write_b32 v11, v173 offset:5408                         // 000000005450: D81A1520 0000AD0B
	ds_write_b32 v11, v174 offset:4480                         // 000000005458: D81A1180 0000AE0B
	ds_write_b32 v11, v175 offset:5536                         // 000000005460: D81A15A0 0000AF0B
	ds_write_b32 v11, v176 offset:8704                         // 000000005468: D81A2200 0000B00B
	ds_write_b32 v11, v177 offset:9760                         // 000000005470: D81A2620 0000B10B
	ds_write_b32 v11, v178 offset:8832                         // 000000005478: D81A2280 0000B20B
	ds_write_b32 v11, v179 offset:9888                         // 000000005480: D81A26A0 0000B30B
	ds_write_b32 v11, v180 offset:13056                        // 000000005488: D81A3300 0000B40B
	ds_write_b32 v11, v181 offset:14112                        // 000000005490: D81A3720 0000B50B
	ds_write_b32 v11, v182 offset:13184                        // 000000005498: D81A3380 0000B60B
	ds_write_b32 v11, v183 offset:14240                        // 0000000054A0: D81A37A0 0000B70B
	buffer_load_dword v36, v1, s[8:11], 0 idxen                // 0000000054A8: E0502000 80022401
	buffer_load_dword v37, v2, s[8:11], 0 idxen                // 0000000054B0: E0502000 80022502
	buffer_load_dword v38, v3, s[8:11], 0 idxen                // 0000000054B8: E0502000 80022603
	buffer_load_dword v39, v4, s[8:11], 0 idxen                // 0000000054C0: E0502000 80022704
	buffer_load_dword v44, v1, s[20:23], 0 idxen               // 0000000054C8: E0502000 80052C01
	buffer_load_dword v45, v2, s[20:23], 0 idxen               // 0000000054D0: E0502000 80052D02
	buffer_load_dword v46, v3, s[20:23], 0 idxen               // 0000000054D8: E0502000 80052E03
	buffer_load_dword v47, v4, s[20:23], 0 idxen               // 0000000054E0: E0502000 80052F04
	s_waitcnt lgkmcnt(0)                                       // 0000000054E8: BF8CC07F
	s_barrier                                                  // 0000000054EC: BF8A0000
	ds_read_b128 a[112:115], v22                               // 0000000054F0: DBFE0000 70000016
	ds_read_b128 a[116:119], v22 offset:512                    // 0000000054F8: DBFE0200 74000016
	ds_read_b128 a[120:123], v22 offset:2176                   // 000000005500: DBFE0880 78000016
	ds_read_b128 a[124:127], v22 offset:2688                   // 000000005508: DBFE0A80 7C000016
	s_add_u32 s8, s68, s8                                      // 000000005510: 80080844
	s_addc_u32 s9, 0, s9                                       // 000000005514: 82090980
	s_add_u32 s20, s68, s20                                    // 000000005518: 80141444
	s_addc_u32 s21, 0, s21                                     // 00000000551C: 82151580
	s_waitcnt vmcnt(16) lgkmcnt(0)                             // 000000005520: BF8C4070
	s_barrier                                                  // 000000005524: BF8A0000
	s_cmp_lt_i32 2, s72                                        // 000000005528: BF044882
	s_cbranch_scc1 label_05DC                                  // 00000000552C: BF850010
	v_mov_b32_e32 v184, 0                                      // 000000005530: 7F700280
	v_mov_b32_e32 v185, 0                                      // 000000005534: 7F720280
	v_mov_b32_e32 v186, 0                                      // 000000005538: 7F740280
	v_mov_b32_e32 v187, 0                                      // 00000000553C: 7F760280
	v_mov_b32_e32 v188, 0                                      // 000000005540: 7F780280
	v_mov_b32_e32 v189, 0                                      // 000000005544: 7F7A0280
	v_mov_b32_e32 v190, 0                                      // 000000005548: 7F7C0280
	v_mov_b32_e32 v191, 0                                      // 00000000554C: 7F7E0280
	v_mov_b32_e32 v192, 0                                      // 000000005550: 7F800280
	v_mov_b32_e32 v193, 0                                      // 000000005554: 7F820280
	v_mov_b32_e32 v194, 0                                      // 000000005558: 7F840280
	v_mov_b32_e32 v195, 0                                      // 00000000555C: 7F860280
	v_mov_b32_e32 v196, 0                                      // 000000005560: 7F880280
	v_mov_b32_e32 v197, 0                                      // 000000005564: 7F8A0280
	v_mov_b32_e32 v198, 0                                      // 000000005568: 7F8C0280
	v_mov_b32_e32 v199, 0                                      // 00000000556C: 7F8E0280

0000000000005570 <label_05DC>:
	ds_write_b32 v11, v184                                     // 000000005570: D81A0000 0000B80B
	ds_write_b32 v11, v185 offset:1056                         // 000000005578: D81A0420 0000B90B
	ds_write_b32 v11, v186 offset:128                          // 000000005580: D81A0080 0000BA0B
	ds_write_b32 v11, v187 offset:1184                         // 000000005588: D81A04A0 0000BB0B
	ds_write_b32 v11, v188 offset:4352                         // 000000005590: D81A1100 0000BC0B
	ds_write_b32 v11, v189 offset:5408                         // 000000005598: D81A1520 0000BD0B
	ds_write_b32 v11, v190 offset:4480                         // 0000000055A0: D81A1180 0000BE0B
	ds_write_b32 v11, v191 offset:5536                         // 0000000055A8: D81A15A0 0000BF0B
	ds_write_b32 v11, v192 offset:8704                         // 0000000055B0: D81A2200 0000C00B
	ds_write_b32 v11, v193 offset:9760                         // 0000000055B8: D81A2620 0000C10B
	ds_write_b32 v11, v194 offset:8832                         // 0000000055C0: D81A2280 0000C20B
	ds_write_b32 v11, v195 offset:9888                         // 0000000055C8: D81A26A0 0000C30B
	ds_write_b32 v11, v196 offset:13056                        // 0000000055D0: D81A3300 0000C40B
	ds_write_b32 v11, v197 offset:14112                        // 0000000055D8: D81A3720 0000C50B
	ds_write_b32 v11, v198 offset:13184                        // 0000000055E0: D81A3380 0000C60B
	ds_write_b32 v11, v199 offset:14240                        // 0000000055E8: D81A37A0 0000C70B
	s_waitcnt lgkmcnt(0)                                       // 0000000055F0: BF8CC07F
	s_barrier                                                  // 0000000055F4: BF8A0000
	ds_read_b128 a[128:131], v22                               // 0000000055F8: DBFE0000 80000016
	ds_read_b128 a[132:135], v22 offset:512                    // 000000005600: DBFE0200 84000016
	ds_read_b128 a[136:139], v22 offset:2176                   // 000000005608: DBFE0880 88000016
	ds_read_b128 a[140:143], v22 offset:2688                   // 000000005610: DBFE0A80 8C000016
	s_waitcnt vmcnt(8) lgkmcnt(0)                              // 000000005618: BF8C0078
	s_barrier                                                  // 00000000561C: BF8A0000
	buffer_load_dword v9, s[24:27], 0 idxen lds                // 000000005620: E0512000 80060009
	s_mov_b32 m0, s81                                          // 000000005628: BEFC0051
	v_add_u32_e32 v9, s69, v9                                  // 00000000562C: 68121245
	v_perm_b32 v84, v33, v32, s63                              // 000000005630: D1ED0054 00FE4121
	v_perm_b32 v85, v33, v32, s64                              // 000000005638: D1ED0055 01024121
	v_perm_b32 v86, v35, v34, s63                              // 000000005640: D1ED0056 00FE4523
	v_perm_b32 v87, v35, v34, s64                              // 000000005648: D1ED0057 01024523
	ds_write_b32 v13, v84 offset:4352                          // 000000005650: D81A1100 0000540D
	ds_write_b32 v13, v85 offset:5408                          // 000000005658: D81A1520 0000550D
	ds_write_b32 v13, v86 offset:4480                          // 000000005660: D81A1180 0000560D
	ds_write_b32 v13, v87 offset:5536                          // 000000005668: D81A15A0 0000570D
	ds_write_b32 v11, v32                                      // 000000005670: D81A0000 0000200B
	ds_write_b32 v11, v33 offset:1056                          // 000000005678: D81A0420 0000210B
	ds_write_b32 v11, v34 offset:128                           // 000000005680: D81A0080 0000220B
	ds_write_b32 v11, v35 offset:1184                          // 000000005688: D81A04A0 0000230B
	buffer_load_dword v9, s[24:27], 0 idxen lds                // 000000005690: E0512000 80060009
	s_mov_b32 m0, s80                                          // 000000005698: BEFC0050
	v_add_u32_e32 v9, s69, v9                                  // 00000000569C: 68121245
	v_perm_b32 v88, v41, v40, s63                              // 0000000056A0: D1ED0058 00FE5129
	v_perm_b32 v89, v41, v40, s64                              // 0000000056A8: D1ED0059 01025129
	v_perm_b32 v90, v43, v42, s63                              // 0000000056B0: D1ED005A 00FE552B
	v_perm_b32 v91, v43, v42, s64                              // 0000000056B8: D1ED005B 0102552B
	ds_write_b32 v13, v88 offset:13056                         // 0000000056C0: D81A3300 0000580D
	ds_write_b32 v13, v89 offset:14112                         // 0000000056C8: D81A3720 0000590D
	ds_write_b32 v13, v90 offset:13184                         // 0000000056D0: D81A3380 00005A0D
	ds_write_b32 v13, v91 offset:14240                         // 0000000056D8: D81A37A0 00005B0D
	ds_write_b32 v11, v40 offset:8704                          // 0000000056E0: D81A2200 0000280B
	ds_write_b32 v11, v41 offset:9760                          // 0000000056E8: D81A2620 0000290B
	ds_write_b32 v11, v42 offset:8832                          // 0000000056F0: D81A2280 00002A0B
	ds_write_b32 v11, v43 offset:9888                          // 0000000056F8: D81A26A0 00002B0B
	s_waitcnt vmcnt(1) lgkmcnt(0)                              // 000000005700: BF8C0071
	s_barrier                                                  // 000000005704: BF8A0000
	ds_read_b128 a[144:147], v10                               // 000000005708: DBFE0000 9000000A
	ds_read_b128 a[148:151], v10 offset:512                    // 000000005710: DBFE0200 9400000A
	ds_read_b128 a[152:155], v10 offset:2176                   // 000000005718: DBFE0880 9800000A
	ds_read_b128 a[156:159], v10 offset:2688                   // 000000005720: DBFE0A80 9C00000A
	ds_read_b128 v[92:95], v10 offset:8704                     // 000000005728: D9FE2200 5C00000A
	ds_read_b128 v[96:99], v10 offset:9216                     // 000000005730: D9FE2400 6000000A
	ds_read_b128 v[100:103], v10 offset:10880                  // 000000005738: D9FE2A80 6400000A
	ds_read_b128 v[104:107], v10 offset:11392                  // 000000005740: D9FE2C80 6800000A
	ds_read_b32 v124, v21 offset:50688                         // 000000005748: D86CC600 7C000015
	ds_read_b32 v150, v21 offset:50944                         // 000000005750: D86CC700 96000015
	v_accvgpr_write_b32 a160, 0                                // 000000005758: D3D940A0 18000080
	v_mov_b32_e32 v152, 0                                      // 000000005760: 7F300280
	v_accvgpr_write_b32 a161, 0                                // 000000005764: D3D940A1 18000080
	v_mov_b32_e32 v153, 0                                      // 00000000576C: 7F320280
	v_accvgpr_write_b32 a162, 0                                // 000000005770: D3D940A2 18000080
	v_mov_b32_e32 v154, 0                                      // 000000005778: 7F340280
	v_accvgpr_write_b32 a163, 0                                // 00000000577C: D3D940A3 18000080
	v_mov_b32_e32 v155, 0                                      // 000000005784: 7F360280
	v_accvgpr_write_b32 a164, 0                                // 000000005788: D3D940A4 18000080
	v_mov_b32_e32 v156, 0                                      // 000000005790: 7F380280
	v_accvgpr_write_b32 a165, 0                                // 000000005794: D3D940A5 18000080
	v_mov_b32_e32 v157, 0                                      // 00000000579C: 7F3A0280
	v_accvgpr_write_b32 a166, 0                                // 0000000057A0: D3D940A6 18000080
	v_mov_b32_e32 v158, 0                                      // 0000000057A8: 7F3C0280
	v_accvgpr_write_b32 a167, 0                                // 0000000057AC: D3D940A7 18000080
	v_mov_b32_e32 v159, 0                                      // 0000000057B4: 7F3E0280
	v_accvgpr_write_b32 a168, 0                                // 0000000057B8: D3D940A8 18000080
	v_mov_b32_e32 v160, 0                                      // 0000000057C0: 7F400280
	v_accvgpr_write_b32 a169, 0                                // 0000000057C4: D3D940A9 18000080
	v_mov_b32_e32 v161, 0                                      // 0000000057CC: 7F420280
	v_accvgpr_write_b32 a170, 0                                // 0000000057D0: D3D940AA 18000080
	v_mov_b32_e32 v162, 0                                      // 0000000057D8: 7F440280
	v_accvgpr_write_b32 a171, 0                                // 0000000057DC: D3D940AB 18000080
	v_mov_b32_e32 v163, 0                                      // 0000000057E4: 7F460280
	v_accvgpr_write_b32 a172, 0                                // 0000000057E8: D3D940AC 18000080
	v_mov_b32_e32 v164, 0                                      // 0000000057F0: 7F480280
	v_accvgpr_write_b32 a173, 0                                // 0000000057F4: D3D940AD 18000080
	v_mov_b32_e32 v165, 0                                      // 0000000057FC: 7F4A0280
	v_accvgpr_write_b32 a174, 0                                // 000000005800: D3D940AE 18000080
	v_mov_b32_e32 v166, 0                                      // 000000005808: 7F4C0280
	v_accvgpr_write_b32 a175, 0                                // 00000000580C: D3D940AF 18000080
	v_mov_b32_e32 v167, 0                                      // 000000005814: 7F4E0280
	v_accvgpr_write_b32 a176, 0                                // 000000005818: D3D940B0 18000080
	v_mov_b32_e32 v168, 0                                      // 000000005820: 7F500280
	v_accvgpr_write_b32 a177, 0                                // 000000005824: D3D940B1 18000080
	v_mov_b32_e32 v169, 0                                      // 00000000582C: 7F520280
	v_accvgpr_write_b32 a178, 0                                // 000000005830: D3D940B2 18000080
	v_mov_b32_e32 v170, 0                                      // 000000005838: 7F540280
	v_accvgpr_write_b32 a179, 0                                // 00000000583C: D3D940B3 18000080
	v_mov_b32_e32 v171, 0                                      // 000000005844: 7F560280
	v_accvgpr_write_b32 a180, 0                                // 000000005848: D3D940B4 18000080
	v_mov_b32_e32 v172, 0                                      // 000000005850: 7F580280
	v_accvgpr_write_b32 a181, 0                                // 000000005854: D3D940B5 18000080
	v_mov_b32_e32 v173, 0                                      // 00000000585C: 7F5A0280
	v_accvgpr_write_b32 a182, 0                                // 000000005860: D3D940B6 18000080
	v_mov_b32_e32 v174, 0                                      // 000000005868: 7F5C0280
	v_accvgpr_write_b32 a183, 0                                // 00000000586C: D3D940B7 18000080
	v_mov_b32_e32 v175, 0                                      // 000000005874: 7F5E0280
	v_accvgpr_write_b32 a184, 0                                // 000000005878: D3D940B8 18000080
	v_mov_b32_e32 v176, 0                                      // 000000005880: 7F600280
	v_accvgpr_write_b32 a185, 0                                // 000000005884: D3D940B9 18000080
	v_mov_b32_e32 v177, 0                                      // 00000000588C: 7F620280
	v_accvgpr_write_b32 a186, 0                                // 000000005890: D3D940BA 18000080
	v_mov_b32_e32 v178, 0                                      // 000000005898: 7F640280
	v_accvgpr_write_b32 a187, 0                                // 00000000589C: D3D940BB 18000080
	v_mov_b32_e32 v179, 0                                      // 0000000058A4: 7F660280
	v_accvgpr_write_b32 a188, 0                                // 0000000058A8: D3D940BC 18000080
	v_mov_b32_e32 v180, 0                                      // 0000000058B0: 7F680280
	v_accvgpr_write_b32 a189, 0                                // 0000000058B4: D3D940BD 18000080
	v_mov_b32_e32 v181, 0                                      // 0000000058BC: 7F6A0280
	v_accvgpr_write_b32 a190, 0                                // 0000000058C0: D3D940BE 18000080
	v_mov_b32_e32 v182, 0                                      // 0000000058C8: 7F6C0280
	v_accvgpr_write_b32 a191, 0                                // 0000000058CC: D3D940BF 18000080
	v_mov_b32_e32 v183, 0                                      // 0000000058D4: 7F6E0280
	v_accvgpr_write_b32 a192, 0                                // 0000000058D8: D3D940C0 18000080
	v_mov_b32_e32 v184, 0                                      // 0000000058E0: 7F700280
	v_accvgpr_write_b32 a193, 0                                // 0000000058E4: D3D940C1 18000080
	v_mov_b32_e32 v185, 0                                      // 0000000058EC: 7F720280
	v_accvgpr_write_b32 a194, 0                                // 0000000058F0: D3D940C2 18000080
	v_mov_b32_e32 v186, 0                                      // 0000000058F8: 7F740280
	v_accvgpr_write_b32 a195, 0                                // 0000000058FC: D3D940C3 18000080
	v_mov_b32_e32 v187, 0                                      // 000000005904: 7F760280
	v_accvgpr_write_b32 a196, 0                                // 000000005908: D3D940C4 18000080
	v_mov_b32_e32 v188, 0                                      // 000000005910: 7F780280
	v_accvgpr_write_b32 a197, 0                                // 000000005914: D3D940C5 18000080
	v_mov_b32_e32 v189, 0                                      // 00000000591C: 7F7A0280
	v_accvgpr_write_b32 a198, 0                                // 000000005920: D3D940C6 18000080
	v_mov_b32_e32 v190, 0                                      // 000000005928: 7F7C0280
	v_accvgpr_write_b32 a199, 0                                // 00000000592C: D3D940C7 18000080
	v_mov_b32_e32 v191, 0                                      // 000000005934: 7F7E0280
	v_accvgpr_write_b32 a200, 0                                // 000000005938: D3D940C8 18000080
	v_mov_b32_e32 v192, 0                                      // 000000005940: 7F800280
	v_accvgpr_write_b32 a201, 0                                // 000000005944: D3D940C9 18000080
	v_mov_b32_e32 v193, 0                                      // 00000000594C: 7F820280
	v_accvgpr_write_b32 a202, 0                                // 000000005950: D3D940CA 18000080
	v_mov_b32_e32 v194, 0                                      // 000000005958: 7F840280
	v_accvgpr_write_b32 a203, 0                                // 00000000595C: D3D940CB 18000080
	v_mov_b32_e32 v195, 0                                      // 000000005964: 7F860280
	v_accvgpr_write_b32 a204, 0                                // 000000005968: D3D940CC 18000080
	v_mov_b32_e32 v196, 0                                      // 000000005970: 7F880280
	v_accvgpr_write_b32 a205, 0                                // 000000005974: D3D940CD 18000080
	v_mov_b32_e32 v197, 0                                      // 00000000597C: 7F8A0280
	v_accvgpr_write_b32 a206, 0                                // 000000005980: D3D940CE 18000080
	v_mov_b32_e32 v198, 0                                      // 000000005988: 7F8C0280
	v_accvgpr_write_b32 a207, 0                                // 00000000598C: D3D940CF 18000080
	v_mov_b32_e32 v199, 0                                      // 000000005994: 7F8E0280
	v_accvgpr_write_b32 a208, 0                                // 000000005998: D3D940D0 18000080
	v_mov_b32_e32 v200, 0                                      // 0000000059A0: 7F900280
	v_accvgpr_write_b32 a209, 0                                // 0000000059A4: D3D940D1 18000080
	v_mov_b32_e32 v201, 0                                      // 0000000059AC: 7F920280
	v_accvgpr_write_b32 a210, 0                                // 0000000059B0: D3D940D2 18000080
	v_mov_b32_e32 v202, 0                                      // 0000000059B8: 7F940280
	v_accvgpr_write_b32 a211, 0                                // 0000000059BC: D3D940D3 18000080
	v_mov_b32_e32 v203, 0                                      // 0000000059C4: 7F960280
	v_accvgpr_write_b32 a212, 0                                // 0000000059C8: D3D940D4 18000080
	v_mov_b32_e32 v204, 0                                      // 0000000059D0: 7F980280
	v_accvgpr_write_b32 a213, 0                                // 0000000059D4: D3D940D5 18000080
	v_mov_b32_e32 v205, 0                                      // 0000000059DC: 7F9A0280
	v_accvgpr_write_b32 a214, 0                                // 0000000059E0: D3D940D6 18000080
	v_mov_b32_e32 v206, 0                                      // 0000000059E8: 7F9C0280
	v_accvgpr_write_b32 a215, 0                                // 0000000059EC: D3D940D7 18000080
	v_mov_b32_e32 v207, 0                                      // 0000000059F4: 7F9E0280
	v_accvgpr_write_b32 a216, 0                                // 0000000059F8: D3D940D8 18000080
	v_mov_b32_e32 v208, 0                                      // 000000005A00: 7FA00280
	v_accvgpr_write_b32 a217, 0                                // 000000005A04: D3D940D9 18000080
	v_mov_b32_e32 v209, 0                                      // 000000005A0C: 7FA20280
	v_accvgpr_write_b32 a218, 0                                // 000000005A10: D3D940DA 18000080
	v_mov_b32_e32 v210, 0                                      // 000000005A18: 7FA40280
	v_accvgpr_write_b32 a219, 0                                // 000000005A1C: D3D940DB 18000080
	v_mov_b32_e32 v211, 0                                      // 000000005A24: 7FA60280
	v_accvgpr_write_b32 a220, 0                                // 000000005A28: D3D940DC 18000080
	v_mov_b32_e32 v212, 0                                      // 000000005A30: 7FA80280
	v_accvgpr_write_b32 a221, 0                                // 000000005A34: D3D940DD 18000080
	v_mov_b32_e32 v213, 0                                      // 000000005A3C: 7FAA0280
	v_accvgpr_write_b32 a222, 0                                // 000000005A40: D3D940DE 18000080
	v_mov_b32_e32 v214, 0                                      // 000000005A48: 7FAC0280
	v_accvgpr_write_b32 a223, 0                                // 000000005A4C: D3D940DF 18000080
	v_mov_b32_e32 v215, 0                                      // 000000005A54: 7FAE0280
	v_accvgpr_write_b32 a224, 0                                // 000000005A58: D3D940E0 18000080
	v_mov_b32_e32 v216, 0                                      // 000000005A60: 7FB00280
	v_accvgpr_write_b32 a225, 0                                // 000000005A64: D3D940E1 18000080
	v_mov_b32_e32 v217, 0                                      // 000000005A6C: 7FB20280
	v_accvgpr_write_b32 a226, 0                                // 000000005A70: D3D940E2 18000080
	v_mov_b32_e32 v218, 0                                      // 000000005A78: 7FB40280
	v_accvgpr_write_b32 a227, 0                                // 000000005A7C: D3D940E3 18000080
	v_mov_b32_e32 v219, 0                                      // 000000005A84: 7FB60280
	v_accvgpr_write_b32 a228, 0                                // 000000005A88: D3D940E4 18000080
	v_mov_b32_e32 v220, 0                                      // 000000005A90: 7FB80280
	v_accvgpr_write_b32 a229, 0                                // 000000005A94: D3D940E5 18000080
	v_mov_b32_e32 v221, 0                                      // 000000005A9C: 7FBA0280
	v_accvgpr_write_b32 a230, 0                                // 000000005AA0: D3D940E6 18000080
	v_mov_b32_e32 v222, 0                                      // 000000005AA8: 7FBC0280
	v_accvgpr_write_b32 a231, 0                                // 000000005AAC: D3D940E7 18000080
	v_mov_b32_e32 v223, 0                                      // 000000005AB4: 7FBE0280
	v_accvgpr_write_b32 a232, 0                                // 000000005AB8: D3D940E8 18000080
	v_mov_b32_e32 v224, 0                                      // 000000005AC0: 7FC00280
	v_accvgpr_write_b32 a233, 0                                // 000000005AC4: D3D940E9 18000080
	v_mov_b32_e32 v225, 0                                      // 000000005ACC: 7FC20280
	v_accvgpr_write_b32 a234, 0                                // 000000005AD0: D3D940EA 18000080
	v_mov_b32_e32 v226, 0                                      // 000000005AD8: 7FC40280
	v_accvgpr_write_b32 a235, 0                                // 000000005ADC: D3D940EB 18000080
	v_mov_b32_e32 v227, 0                                      // 000000005AE4: 7FC60280
	v_accvgpr_write_b32 a236, 0                                // 000000005AE8: D3D940EC 18000080
	v_mov_b32_e32 v228, 0                                      // 000000005AF0: 7FC80280
	v_accvgpr_write_b32 a237, 0                                // 000000005AF4: D3D940ED 18000080
	v_mov_b32_e32 v229, 0                                      // 000000005AFC: 7FCA0280
	v_accvgpr_write_b32 a238, 0                                // 000000005B00: D3D940EE 18000080
	v_mov_b32_e32 v230, 0                                      // 000000005B08: 7FCC0280
	v_accvgpr_write_b32 a239, 0                                // 000000005B0C: D3D940EF 18000080
	v_mov_b32_e32 v231, 0                                      // 000000005B14: 7FCE0280
	v_accvgpr_write_b32 a240, 0                                // 000000005B18: D3D940F0 18000080
	v_mov_b32_e32 v232, 0                                      // 000000005B20: 7FD00280
	v_accvgpr_write_b32 a241, 0                                // 000000005B24: D3D940F1 18000080
	v_mov_b32_e32 v233, 0                                      // 000000005B2C: 7FD20280
	v_accvgpr_write_b32 a242, 0                                // 000000005B30: D3D940F2 18000080
	v_mov_b32_e32 v234, 0                                      // 000000005B38: 7FD40280
	v_accvgpr_write_b32 a243, 0                                // 000000005B3C: D3D940F3 18000080
	v_mov_b32_e32 v235, 0                                      // 000000005B44: 7FD60280
	v_accvgpr_write_b32 a244, 0                                // 000000005B48: D3D940F4 18000080
	v_mov_b32_e32 v236, 0                                      // 000000005B50: 7FD80280
	v_accvgpr_write_b32 a245, 0                                // 000000005B54: D3D940F5 18000080
	v_mov_b32_e32 v237, 0                                      // 000000005B5C: 7FDA0280
	v_accvgpr_write_b32 a246, 0                                // 000000005B60: D3D940F6 18000080
	v_mov_b32_e32 v238, 0                                      // 000000005B68: 7FDC0280
	v_accvgpr_write_b32 a247, 0                                // 000000005B6C: D3D940F7 18000080
	v_mov_b32_e32 v239, 0                                      // 000000005B74: 7FDE0280
	v_accvgpr_write_b32 a248, 0                                // 000000005B78: D3D940F8 18000080
	v_mov_b32_e32 v240, 0                                      // 000000005B80: 7FE00280
	v_accvgpr_write_b32 a249, 0                                // 000000005B84: D3D940F9 18000080
	v_mov_b32_e32 v241, 0                                      // 000000005B8C: 7FE20280
	v_accvgpr_write_b32 a250, 0                                // 000000005B90: D3D940FA 18000080
	v_mov_b32_e32 v242, 0                                      // 000000005B98: 7FE40280
	v_accvgpr_write_b32 a251, 0                                // 000000005B9C: D3D940FB 18000080
	v_mov_b32_e32 v243, 0                                      // 000000005BA4: 7FE60280
	v_accvgpr_write_b32 a252, 0                                // 000000005BA8: D3D940FC 18000080
	v_mov_b32_e32 v244, 0                                      // 000000005BB0: 7FE80280
	v_accvgpr_write_b32 a253, 0                                // 000000005BB4: D3D940FD 18000080
	v_mov_b32_e32 v245, 0                                      // 000000005BBC: 7FEA0280
	v_accvgpr_write_b32 a254, 0                                // 000000005BC0: D3D940FE 18000080
	v_mov_b32_e32 v246, 0                                      // 000000005BC8: 7FEC0280
	v_accvgpr_write_b32 a255, 0                                // 000000005BCC: D3D940FF 18000080
	v_mov_b32_e32 v247, 0                                      // 000000005BD4: 7FEE0280
	v_mov_b32_e32 v136, 0                                      // 000000005BD8: 7F100280
	v_mov_b32_e32 v137, 0                                      // 000000005BDC: 7F120280
	v_mov_b32_e32 v138, 0                                      // 000000005BE0: 7F140280
	v_mov_b32_e32 v139, 0                                      // 000000005BE4: 7F160280
	v_mov_b32_e32 v140, 0                                      // 000000005BE8: 7F180280
	v_mov_b32_e32 v141, 0                                      // 000000005BEC: 7F1A0280
	v_mov_b32_e32 v142, 0                                      // 000000005BF0: 7F1C0280
	v_mov_b32_e32 v143, 0                                      // 000000005BF4: 7F1E0280
	v_mov_b32_e32 v128, 0                                      // 000000005BF8: 7F000280
	v_mov_b32_e32 v129, 0                                      // 000000005BFC: 7F020280
	v_mov_b32_e32 v130, 0                                      // 000000005C00: 7F040280
	v_mov_b32_e32 v131, 0                                      // 000000005C04: 7F060280
	v_mov_b32_e32 v132, 0                                      // 000000005C08: 7F080280
	v_mov_b32_e32 v133, 0                                      // 000000005C0C: 7F0A0280
	v_mov_b32_e32 v134, 0                                      // 000000005C10: 7F0C0280
	v_mov_b32_e32 v135, 0                                      // 000000005C14: 7F0E0280
	s_waitcnt lgkmcnt(0)                                       // 000000005C18: BF8CC07F
	s_barrier                                                  // 000000005C1C: BF8A0000
	buffer_load_dword v32, v1, s[8:11], 0 idxen                // 000000005C20: E0502000 80022001
	buffer_load_dword v33, v2, s[8:11], 0 idxen                // 000000005C28: E0502000 80022102
	buffer_load_dword v34, v3, s[8:11], 0 idxen                // 000000005C30: E0502000 80022203
	buffer_load_dword v35, v4, s[8:11], 0 idxen                // 000000005C38: E0502000 80022304
	buffer_load_dword v40, v1, s[20:23], 0 idxen               // 000000005C40: E0502000 80052801
	buffer_load_dword v41, v2, s[20:23], 0 idxen               // 000000005C48: E0502000 80052902
	buffer_load_dword v42, v3, s[20:23], 0 idxen               // 000000005C50: E0502000 80052A03
	buffer_load_dword v43, v4, s[20:23], 0 idxen               // 000000005C58: E0502000 80052B04
	buffer_load_dword v9, s[24:27], 0 idxen lds                // 000000005C60: E0512000 80060009
	s_mov_b32 m0, s81                                          // 000000005C68: BEFC0051
	v_add_u32_e32 v9, s69, v9                                  // 000000005C6C: 68121245
	s_add_u32 s8, s68, s8                                      // 000000005C70: 80080844
	s_addc_u32 s9, 0, s9                                       // 000000005C74: 82090980
	s_add_u32 s20, s68, s20                                    // 000000005C78: 80141444
	s_addc_u32 s21, 0, s21                                     // 000000005C7C: 82151580
	v_mul_f32_e32 v124, s49, v124                              // 000000005C80: 0AF8F831
	v_perm_b32 v84, v37, v36, s63                              // 000000005C84: D1ED0054 00FE4925
	v_perm_b32 v85, v37, v36, s64                              // 000000005C8C: D1ED0055 01024925
	v_perm_b32 v86, v39, v38, s63                              // 000000005C94: D1ED0056 00FE4D27
	v_perm_b32 v87, v39, v38, s64                              // 000000005C9C: D1ED0057 01024D27
	v_perm_b32 v88, v45, v44, s63                              // 000000005CA4: D1ED0058 00FE592D
	v_perm_b32 v89, v45, v44, s64                              // 000000005CAC: D1ED0059 0102592D
	v_perm_b32 v90, v47, v46, s63                              // 000000005CB4: D1ED005A 00FE5D2F
	v_perm_b32 v91, v47, v46, s64                              // 000000005CBC: D1ED005B 01025D2F
	v_mov_b32_dpp v127, v124 quad_perm:[3,3,3,3] row_mask:0xf bank_mask:0xf// 000000005CC4: 7EFE02FA FF00FF7C
	v_mov_b32_dpp v126, v124 quad_perm:[2,2,2,2] row_mask:0xf bank_mask:0xf// 000000005CCC: 7EFC02FA FF00AA7C
	v_mov_b32_dpp v125, v124 quad_perm:[1,1,1,1] row_mask:0xf bank_mask:0xf// 000000005CD4: 7EFA02FA FF00557C
	v_mov_b32_dpp v124, v124 quad_perm:[0,0,0,0] row_mask:0xf bank_mask:0xf// 000000005CDC: 7EF802FA FF00007C
	s_waitcnt vmcnt(9)                                         // 000000005CE4: BF8C0F79
	s_barrier                                                  // 000000005CE8: BF8A0000
	s_cmp_lt_i32 s47, 2                                        // 000000005CEC: BF04822F
	s_cbranch_scc0 label_0E43                                  // 000000005CF0: BF840686
	s_nop 0                                                    // 000000005CF4: BF800000
	s_nop 0                                                    // 000000005CF8: BF800000

0000000000005cfc <label_07BF>:
	s_waitcnt lgkmcnt(4)                                       // 000000005CFC: BF8CC47F
	s_barrier                                                  // 000000005D00: BF8A0000
	v_mfma_f32_16x16x16_bf16 v[48:51], a[144:145], a[0:1], 0   // 000000005D04: D3E10030 1A020190
	ds_write_b32 v11, v44 offset:8704                          // 000000005D0C: D81A2200 00002C0B
	ds_write_b32 v11, v45 offset:9760                          // 000000005D14: D81A2620 00002D0B
	v_mfma_f32_16x16x16_bf16 v[48:51], a[146:147], a[2:3], v[48:51]// 000000005D1C: D3E10030 1CC20592
	v_mul_f32_e32 v128, s48, v128                              // 000000005D24: 0B010030
	v_mul_f32_e32 v129, s48, v129                              // 000000005D28: 0B030230
	v_mfma_f32_16x16x16_bf16 v[48:51], a[148:149], a[4:5], v[48:51]// 000000005D2C: D3E10030 1CC20994
	ds_write_b32 v11, v46 offset:8832                          // 000000005D34: D81A2280 00002E0B
	ds_write_b32 v11, v47 offset:9888                          // 000000005D3C: D81A26A0 00002F0B
	v_mfma_f32_16x16x16_bf16 v[48:51], a[150:151], a[6:7], v[48:51]// 000000005D44: D3E10030 1CC20D96
	v_mul_f32_e32 v130, s48, v130                              // 000000005D4C: 0B050430
	v_mul_f32_e32 v131, s48, v131                              // 000000005D50: 0B070630
	v_mfma_f32_16x16x16_bf16 v[48:51], a[152:153], a[8:9], v[48:51]// 000000005D54: D3E10030 1CC21198
	ds_write_b64 v20, v[128:129] offset:24320                  // 000000005D5C: D89A5F00 00008014
	v_mfma_f32_16x16x16_bf16 v[48:51], a[154:155], a[10:11], v[48:51]// 000000005D64: D3E10030 1CC2159A
	v_mul_f32_e32 v132, s48, v132                              // 000000005D6C: 0B090830
	v_mul_f32_e32 v133, s48, v133                              // 000000005D70: 0B0B0A30
	v_mfma_f32_16x16x16_bf16 v[48:51], a[156:157], a[12:13], v[48:51]// 000000005D74: D3E10030 1CC2199C
	ds_write_b64 v20, v[130:131] offset:24832                  // 000000005D7C: D89A6100 00008214
	v_mfma_f32_16x16x16_bf16 v[48:51], a[158:159], a[14:15], v[48:51]// 000000005D84: D3E10030 1CC21D9E
	v_mul_f32_e32 v134, s48, v134                              // 000000005D8C: 0B0D0C30
	v_mul_f32_e32 v135, s48, v135                              // 000000005D90: 0B0F0E30
	v_mfma_f32_16x16x16_bf16 v[52:55], a[144:145], a[16:17], 0 // 000000005D94: D3E10034 1A022190
	ds_write_b64 v20, v[132:133] offset:25344                  // 000000005D9C: D89A6300 00008414
	v_mfma_f32_16x16x16_bf16 v[52:55], a[146:147], a[18:19], v[52:55]// 000000005DA4: D3E10034 1CD22592
	buffer_atomic_add_f32 v140, v7, s[32:35], 0 idxen offset:256// 000000005DAC: E1342100 80088C07
	v_mfma_f32_16x16x16_bf16 v[52:55], a[148:149], a[20:21], v[52:55]// 000000005DB4: D3E10034 1CD22994
	ds_write_b64 v20, v[134:135] offset:25856                  // 000000005DBC: D89A6500 00008614
	v_mfma_f32_16x16x16_bf16 v[52:55], a[150:151], a[22:23], v[52:55]// 000000005DC4: D3E10034 1CD22D96
	v_mfma_f32_16x16x16_bf16 v[52:55], a[152:153], a[24:25], v[52:55]// 000000005DCC: D3E10034 1CD23198
	ds_read_b128 v[108:111], v12 offset:13056                  // 000000005DD4: D9FE3300 6C00000C
	ds_write_b32 v11, v36                                      // 000000005DDC: D81A0000 0000240B
	v_mfma_f32_16x16x16_bf16 v[52:55], a[154:155], a[26:27], v[52:55]// 000000005DE4: D3E10034 1CD2359A
	buffer_atomic_add_f32 v141, v8, s[32:35], 0 idxen offset:256// 000000005DEC: E1342100 80088D08
	v_mfma_f32_16x16x16_bf16 v[52:55], a[156:157], a[28:29], v[52:55]// 000000005DF4: D3E10034 1CD2399C
	v_mfma_f32_16x16x16_bf16 v[52:55], a[158:159], a[30:31], v[52:55]// 000000005DFC: D3E10034 1CD23D9E
	ds_read_b128 v[112:115], v12 offset:13568                  // 000000005E04: D9FE3500 7000000C
	ds_write_b32 v11, v37 offset:1056                          // 000000005E0C: D81A0420 0000250B
	v_mfma_f32_16x16x16_bf16 v[56:59], a[144:145], a[32:33], 0 // 000000005E14: D3E10038 1A024190
	buffer_atomic_add_f32 v142, v7, s[32:35], 0 idxen offset:384// 000000005E1C: E1342180 80088E07
	v_mfma_f32_16x16x16_bf16 v[56:59], a[146:147], a[34:35], v[56:59]// 000000005E24: D3E10038 1CE24592
	v_mfma_f32_16x16x16_bf16 v[56:59], a[148:149], a[36:37], v[56:59]// 000000005E2C: D3E10038 1CE24994
	ds_read_b128 v[116:119], v12 offset:15232                  // 000000005E34: D9FE3B80 7400000C
	ds_write_b32 v11, v38 offset:128                           // 000000005E3C: D81A0080 0000260B
	v_mfma_f32_16x16x16_bf16 v[56:59], a[150:151], a[38:39], v[56:59]// 000000005E44: D3E10038 1CE24D96
	v_mfma_f32_16x16x16_bf16 v[56:59], a[152:153], a[40:41], v[56:59]// 000000005E4C: D3E10038 1CE25198
	buffer_atomic_add_f32 v143, v8, s[32:35], 0 idxen offset:384// 000000005E54: E1342180 80088F08
	v_mfma_f32_16x16x16_bf16 v[56:59], a[154:155], a[42:43], v[56:59]// 000000005E5C: D3E10038 1CE2559A
	ds_read_b128 v[120:123], v12 offset:15744                  // 000000005E64: D9FE3D80 7800000C
	ds_write_b32 v11, v39 offset:1184                          // 000000005E6C: D81A04A0 0000270B
	v_mfma_f32_16x16x16_bf16 v[56:59], a[156:157], a[44:45], v[56:59]// 000000005E74: D3E10038 1CE2599C
	v_mfma_f32_16x16x16_bf16 v[56:59], a[158:159], a[46:47], v[56:59]// 000000005E7C: D3E10038 1CE25D9E
	s_cmp_lt_i32 s74, 12                                       // 000000005E84: BF048C4A
	s_cbranch_scc0 label_0898                                  // 000000005E88: BF840075
	s_mov_b32 s60, 0xffe0fffe                                  // 000000005E8C: BEBC00FF FFE0FFFE
	s_mov_b32 s61, 0xe000fe00                                  // 000000005E94: BEBD00FF E000FE00
	s_nop 0                                                    // 000000005E9C: BF800000
	s_add_u32 s62, 0, s47                                      // 000000005EA0: 803E2F80
	s_cmp_lt_i32 s74, s62                                      // 000000005EA4: BF043E4A
	s_cbranch_scc1 label_0853                                  // 000000005EA8: BF850028
	s_cmp_eq_i32 s74, s62                                      // 000000005EAC: BF003E4A
	s_cbranch_scc1 label_0838                                  // 000000005EB0: BF85000B
	s_add_u32 s62, 4, s47                                      // 000000005EB4: 803E2F84
	s_cmp_lt_i32 s74, s62                                      // 000000005EB8: BF043E4A
	s_cbranch_scc1 label_0873                                  // 000000005EBC: BF850043
	s_cmp_eq_i32 s74, s62                                      // 000000005EC0: BF003E4A
	s_cbranch_scc1 label_0858                                  // 000000005EC4: BF850026
	s_add_u32 s62, 8, s47                                      // 000000005EC8: 803E2F88
	s_cmp_lt_i32 s74, s62                                      // 000000005ECC: BF043E4A
	s_cbranch_scc1 label_0893                                  // 000000005ED0: BF85005E
	s_cmp_eq_i32 s74, s62                                      // 000000005ED4: BF003E4A
	s_cbranch_scc1 label_0878                                  // 000000005ED8: BF850041
	s_branch label_0898                                        // 000000005EDC: BF820060

0000000000005ee0 <label_0838>:
	v_cndmask_b32_e64 v48, v48, v151, s[60:61]                 // 000000005EE0: D1000030 00F32F30
	s_lshl_b32 s60, s60, 1                                     // 000000005EE8: 8E3C813C
	s_lshl_b32 s61, s61, 1                                     // 000000005EEC: 8E3D813D
	s_and_b32 s60, 0xfffeffff, s60                             // 000000005EF0: 863C3CFF FFFEFFFF
	s_and_b32 s61, 0xfffeffff, s61                             // 000000005EF8: 863D3DFF FFFEFFFF
	v_cndmask_b32_e64 v49, v49, v151, s[60:61]                 // 000000005F00: D1000031 00F32F31
	s_lshl_b32 s60, s60, 1                                     // 000000005F08: 8E3C813C
	s_lshl_b32 s61, s61, 1                                     // 000000005F0C: 8E3D813D
	s_and_b32 s60, 0xfffeffff, s60                             // 000000005F10: 863C3CFF FFFEFFFF
	s_and_b32 s61, 0xfffeffff, s61                             // 000000005F18: 863D3DFF FFFEFFFF
	v_cndmask_b32_e64 v50, v50, v151, s[60:61]                 // 000000005F20: D1000032 00F32F32
	s_lshl_b32 s60, s60, 1                                     // 000000005F28: 8E3C813C
	s_lshl_b32 s61, s61, 1                                     // 000000005F2C: 8E3D813D
	s_and_b32 s60, 0xfffeffff, s60                             // 000000005F30: 863C3CFF FFFEFFFF
	s_and_b32 s61, 0xfffeffff, s61                             // 000000005F38: 863D3DFF FFFEFFFF
	v_cndmask_b32_e64 v51, v51, v151, s[60:61]                 // 000000005F40: D1000033 00F32F33
	s_branch label_0873                                        // 000000005F48: BF820020

0000000000005f4c <label_0853>:
	v_mov_b32_e32 v48, v151                                    // 000000005F4C: 7E600397
	v_mov_b32_e32 v49, v151                                    // 000000005F50: 7E620397
	v_mov_b32_e32 v50, v151                                    // 000000005F54: 7E640397
	v_mov_b32_e32 v51, v151                                    // 000000005F58: 7E660397
	s_branch label_0873                                        // 000000005F5C: BF82001B

0000000000005f60 <label_0858>:
	v_cndmask_b32_e64 v52, v52, v151, s[60:61]                 // 000000005F60: D1000034 00F32F34
	s_lshl_b32 s60, s60, 1                                     // 000000005F68: 8E3C813C
	s_lshl_b32 s61, s61, 1                                     // 000000005F6C: 8E3D813D
	s_and_b32 s60, 0xfffeffff, s60                             // 000000005F70: 863C3CFF FFFEFFFF
	s_and_b32 s61, 0xfffeffff, s61                             // 000000005F78: 863D3DFF FFFEFFFF
	v_cndmask_b32_e64 v53, v53, v151, s[60:61]                 // 000000005F80: D1000035 00F32F35
	s_lshl_b32 s60, s60, 1                                     // 000000005F88: 8E3C813C
	s_lshl_b32 s61, s61, 1                                     // 000000005F8C: 8E3D813D
	s_and_b32 s60, 0xfffeffff, s60                             // 000000005F90: 863C3CFF FFFEFFFF
	s_and_b32 s61, 0xfffeffff, s61                             // 000000005F98: 863D3DFF FFFEFFFF
	v_cndmask_b32_e64 v54, v54, v151, s[60:61]                 // 000000005FA0: D1000036 00F32F36
	s_lshl_b32 s60, s60, 1                                     // 000000005FA8: 8E3C813C
	s_lshl_b32 s61, s61, 1                                     // 000000005FAC: 8E3D813D
	s_and_b32 s60, 0xfffeffff, s60                             // 000000005FB0: 863C3CFF FFFEFFFF
	s_and_b32 s61, 0xfffeffff, s61                             // 000000005FB8: 863D3DFF FFFEFFFF
	v_cndmask_b32_e64 v55, v55, v151, s[60:61]                 // 000000005FC0: D1000037 00F32F37
	s_branch label_0893                                        // 000000005FC8: BF820020

0000000000005fcc <label_0873>:
	v_mov_b32_e32 v52, v151                                    // 000000005FCC: 7E680397
	v_mov_b32_e32 v53, v151                                    // 000000005FD0: 7E6A0397
	v_mov_b32_e32 v54, v151                                    // 000000005FD4: 7E6C0397
	v_mov_b32_e32 v55, v151                                    // 000000005FD8: 7E6E0397
	s_branch label_0893                                        // 000000005FDC: BF82001B

0000000000005fe0 <label_0878>:
	v_cndmask_b32_e64 v56, v56, v151, s[60:61]                 // 000000005FE0: D1000038 00F32F38
	s_lshl_b32 s60, s60, 1                                     // 000000005FE8: 8E3C813C
	s_lshl_b32 s61, s61, 1                                     // 000000005FEC: 8E3D813D
	s_and_b32 s60, 0xfffeffff, s60                             // 000000005FF0: 863C3CFF FFFEFFFF
	s_and_b32 s61, 0xfffeffff, s61                             // 000000005FF8: 863D3DFF FFFEFFFF
	v_cndmask_b32_e64 v57, v57, v151, s[60:61]                 // 000000006000: D1000039 00F32F39
	s_lshl_b32 s60, s60, 1                                     // 000000006008: 8E3C813C
	s_lshl_b32 s61, s61, 1                                     // 00000000600C: 8E3D813D
	s_and_b32 s60, 0xfffeffff, s60                             // 000000006010: 863C3CFF FFFEFFFF
	s_and_b32 s61, 0xfffeffff, s61                             // 000000006018: 863D3DFF FFFEFFFF
	v_cndmask_b32_e64 v58, v58, v151, s[60:61]                 // 000000006020: D100003A 00F32F3A
	s_lshl_b32 s60, s60, 1                                     // 000000006028: 8E3C813C
	s_lshl_b32 s61, s61, 1                                     // 00000000602C: 8E3D813D
	s_and_b32 s60, 0xfffeffff, s60                             // 000000006030: 863C3CFF FFFEFFFF
	s_and_b32 s61, 0xfffeffff, s61                             // 000000006038: 863D3DFF FFFEFFFF
	v_cndmask_b32_e64 v59, v59, v151, s[60:61]                 // 000000006040: D100003B 00F32F3B
	s_branch label_0898                                        // 000000006048: BF820005

000000000000604c <label_0893>:
	v_mov_b32_e32 v56, v151                                    // 00000000604C: 7E700397
	v_mov_b32_e32 v57, v151                                    // 000000006050: 7E720397
	v_mov_b32_e32 v58, v151                                    // 000000006054: 7E740397
	v_mov_b32_e32 v59, v151                                    // 000000006058: 7E760397
	s_branch label_0898                                        // 00000000605C: BF820000

0000000000006060 <label_0898>:
	s_addk_i32 s74, 0x1                                        // 000000006060: B74A0001
	s_waitcnt lgkmcnt(8)                                       // 000000006064: BF8CC87F
	s_barrier                                                  // 000000006068: BF8A0000
	v_mfma_f32_16x16x16_bf16 v[72:75], v[92:93], a[96:97], 0   // 00000000606C: D3E10048 1202C15C
	ds_read_b128 a[144:147], v12 offset:4352                   // 000000006074: DBFE1100 9000000C
	ds_read_b128 a[148:151], v12 offset:4864                   // 00000000607C: DBFE1300 9400000C
	v_mfma_f32_16x16x16_bf16 v[72:75], v[94:95], a[98:99], v[72:75]// 000000006084: D3E10048 1522C55E
	v_fma_f32 v48, v48, s57, -v124                             // 00000000608C: D1CB0030 85F07330
	v_fma_f32 v49, v49, s57, -v125                             // 000000006094: D1CB0031 85F47331
	v_fma_f32 v50, v50, s57, -v126                             // 00000000609C: D1CB0032 85F87332
	v_mfma_f32_16x16x16_bf16 v[72:75], v[96:97], a[100:101], v[72:75]// 0000000060A4: D3E10048 1522C960
	v_fma_f32 v51, v51, s57, -v127                             // 0000000060AC: D1CB0033 85FC7333
	v_fma_f32 v52, v52, s57, -v124                             // 0000000060B4: D1CB0034 85F07334
	v_fma_f32 v53, v53, s57, -v125                             // 0000000060BC: D1CB0035 85F47335
	v_mfma_f32_16x16x16_bf16 v[72:75], v[98:99], a[102:103], v[72:75]// 0000000060C4: D3E10048 1522CD62
	v_fma_f32 v54, v54, s57, -v126                             // 0000000060CC: D1CB0036 85F87336
	v_fma_f32 v55, v55, s57, -v127                             // 0000000060D4: D1CB0037 85FC7337
	v_fma_f32 v56, v56, s57, -v124                             // 0000000060DC: D1CB0038 85F07338
	v_mfma_f32_16x16x16_bf16 v[72:75], v[100:101], a[104:105], v[72:75]// 0000000060E4: D3E10048 1522D164
	ds_read_b128 a[152:155], v12 offset:6528                   // 0000000060EC: DBFE1980 9800000C
	ds_read_b128 a[156:159], v12 offset:7040                   // 0000000060F4: DBFE1B80 9C00000C
	v_mfma_f32_16x16x16_bf16 v[72:75], v[102:103], a[106:107], v[72:75]// 0000000060FC: D3E10048 1522D566
	v_fma_f32 v57, v57, s57, -v125                             // 000000006104: D1CB0039 85F47339
	v_fma_f32 v58, v58, s57, -v126                             // 00000000610C: D1CB003A 85F8733A
	v_fma_f32 v59, v59, s57, -v127                             // 000000006114: D1CB003B 85FC733B
	v_mfma_f32_16x16x16_bf16 v[72:75], v[104:105], a[108:109], v[72:75]// 00000000611C: D3E10048 1522D968
	v_exp_f32_e32 v48, v48                                     // 000000006124: 7E604130
	v_mfma_f32_16x16x16_bf16 v[72:75], v[106:107], a[110:111], v[72:75]// 000000006128: D3E10048 1522DD6A
	v_exp_f32_e32 v49, v49                                     // 000000006130: 7E624131
	v_mfma_f32_16x16x16_bf16 v[76:79], v[92:93], a[112:113], 0 // 000000006134: D3E1004C 1202E15C
	ds_read_b64 v[136:137], v19 offset:24320                   // 00000000613C: D8EC5F00 88000013
	ds_read_b64 v[138:139], v19 offset:26368                   // 000000006144: D8EC6700 8A000013
	v_mfma_f32_16x16x16_bf16 v[76:79], v[94:95], a[114:115], v[76:79]// 00000000614C: D3E1004C 1532E55E
	v_exp_f32_e32 v50, v50                                     // 000000006154: 7E644132
	v_mfma_f32_16x16x16_bf16 v[76:79], v[96:97], a[116:117], v[76:79]// 000000006158: D3E1004C 1532E960
	ds_read_b64 v[140:141], v19 offset:28416                   // 000000006160: D8EC6F00 8C000013
	ds_read_b64 v[142:143], v19 offset:30464                   // 000000006168: D8EC7700 8E000013
	v_mfma_f32_16x16x16_bf16 v[76:79], v[98:99], a[118:119], v[76:79]// 000000006170: D3E1004C 1532ED62
	v_exp_f32_e32 v51, v51                                     // 000000006178: 7E664133
	v_mfma_f32_16x16x16_bf16 v[76:79], v[100:101], a[120:121], v[76:79]// 00000000617C: D3E1004C 1532F164
	v_exp_f32_e32 v52, v52                                     // 000000006184: 7E684134
	v_mfma_f32_16x16x16_bf16 v[76:79], v[102:103], a[122:123], v[76:79]// 000000006188: D3E1004C 1532F566
	v_exp_f32_e32 v53, v53                                     // 000000006190: 7E6A4135
	v_mfma_f32_16x16x16_bf16 v[76:79], v[104:105], a[124:125], v[76:79]// 000000006194: D3E1004C 1532F968
	v_exp_f32_e32 v54, v54                                     // 00000000619C: 7E6C4136
	v_mfma_f32_16x16x16_bf16 v[76:79], v[106:107], a[126:127], v[76:79]// 0000000061A0: D3E1004C 1532FD6A
	v_exp_f32_e32 v55, v55                                     // 0000000061A8: 7E6E4137
	v_mfma_f32_16x16x16_bf16 v[80:83], v[92:93], a[128:129], 0 // 0000000061AC: D3E10050 1203015C
	v_exp_f32_e32 v56, v56                                     // 0000000061B4: 7E704138
	v_mfma_f32_16x16x16_bf16 v[80:83], v[94:95], a[130:131], v[80:83]// 0000000061B8: D3E10050 1543055E
	v_exp_f32_e32 v57, v57                                     // 0000000061C0: 7E724139
	v_mfma_f32_16x16x16_bf16 v[80:83], v[96:97], a[132:133], v[80:83]// 0000000061C4: D3E10050 15430960
	v_exp_f32_e32 v58, v58                                     // 0000000061CC: 7E74413A
	v_mfma_f32_16x16x16_bf16 v[80:83], v[98:99], a[134:135], v[80:83]// 0000000061D0: D3E10050 15430D62
	v_exp_f32_e32 v59, v59                                     // 0000000061D8: 7E76413B
	v_mfma_f32_16x16x16_bf16 v[80:83], v[100:101], a[136:137], v[80:83]// 0000000061DC: D3E10050 15431164
	v_cmp_u_f32_e64 s[78:79], v48, v48                         // 0000000061E4: D048004E 00026130
	v_add3_u32 v248, v48, v251, 1                              // 0000000061EC: D1FF00F8 0207F730
	v_cndmask_b32_e64 v28, v248, v250, s[78:79]                // 0000000061F4: D100001C 013BF5F8
	v_cmp_u_f32_e64 s[78:79], v49, v49                         // 0000000061FC: D048004E 00026331
	v_add3_u32 v248, v49, v251, 1                              // 000000006204: D1FF00F8 0207F731
	v_cndmask_b32_e64 v29, v248, v250, s[78:79]                // 00000000620C: D100001D 013BF5F8
	v_perm_b32 v144, v29, v28, s64                             // 000000006214: D1ED0090 0102391D
	v_cmp_u_f32_e64 s[78:79], v50, v50                         // 00000000621C: D048004E 00026532
	v_add3_u32 v248, v50, v251, 1                              // 000000006224: D1FF00F8 0207F732
	v_cndmask_b32_e64 v28, v248, v250, s[78:79]                // 00000000622C: D100001C 013BF5F8
	v_cmp_u_f32_e64 s[78:79], v51, v51                         // 000000006234: D048004E 00026733
	v_add3_u32 v248, v51, v251, 1                              // 00000000623C: D1FF00F8 0207F733
	v_cndmask_b32_e64 v29, v248, v250, s[78:79]                // 000000006244: D100001D 013BF5F8
	v_perm_b32 v145, v29, v28, s64                             // 00000000624C: D1ED0091 0102391D
	v_cmp_u_f32_e64 s[78:79], v52, v52                         // 000000006254: D048004E 00026934
	v_add3_u32 v248, v52, v251, 1                              // 00000000625C: D1FF00F8 0207F734
	v_cndmask_b32_e64 v28, v248, v250, s[78:79]                // 000000006264: D100001C 013BF5F8
	v_cmp_u_f32_e64 s[78:79], v53, v53                         // 00000000626C: D048004E 00026B35
	v_add3_u32 v248, v53, v251, 1                              // 000000006274: D1FF00F8 0207F735
	v_cndmask_b32_e64 v29, v248, v250, s[78:79]                // 00000000627C: D100001D 013BF5F8
	v_perm_b32 v146, v29, v28, s64                             // 000000006284: D1ED0092 0102391D
	v_mfma_f32_16x16x16_bf16 v[80:83], v[102:103], a[138:139], v[80:83]// 00000000628C: D3E10050 15431566
	v_cmp_u_f32_e64 s[78:79], v54, v54                         // 000000006294: D048004E 00026D36
	v_add3_u32 v248, v54, v251, 1                              // 00000000629C: D1FF00F8 0207F736
	v_cndmask_b32_e64 v28, v248, v250, s[78:79]                // 0000000062A4: D100001C 013BF5F8
	v_cmp_u_f32_e64 s[78:79], v55, v55                         // 0000000062AC: D048004E 00026F37
	v_add3_u32 v248, v55, v251, 1                              // 0000000062B4: D1FF00F8 0207F737
	v_cndmask_b32_e64 v29, v248, v250, s[78:79]                // 0000000062BC: D100001D 013BF5F8
	v_perm_b32 v147, v29, v28, s64                             // 0000000062C4: D1ED0093 0102391D
	v_cmp_u_f32_e64 s[78:79], v56, v56                         // 0000000062CC: D048004E 00027138
	v_add3_u32 v248, v56, v251, 1                              // 0000000062D4: D1FF00F8 0207F738
	v_cndmask_b32_e64 v28, v248, v250, s[78:79]                // 0000000062DC: D100001C 013BF5F8
	v_cmp_u_f32_e64 s[78:79], v57, v57                         // 0000000062E4: D048004E 00027339
	v_add3_u32 v248, v57, v251, 1                              // 0000000062EC: D1FF00F8 0207F739
	v_cndmask_b32_e64 v29, v248, v250, s[78:79]                // 0000000062F4: D100001D 013BF5F8
	v_perm_b32 v148, v29, v28, s64                             // 0000000062FC: D1ED0094 0102391D
	v_cmp_u_f32_e64 s[78:79], v58, v58                         // 000000006304: D048004E 0002753A
	v_add3_u32 v248, v58, v251, 1                              // 00000000630C: D1FF00F8 0207F73A
	v_cndmask_b32_e64 v28, v248, v250, s[78:79]                // 000000006314: D100001C 013BF5F8
	v_cmp_u_f32_e64 s[78:79], v59, v59                         // 00000000631C: D048004E 0002773B
	v_add3_u32 v248, v59, v251, 1                              // 000000006324: D1FF00F8 0207F73B
	v_cndmask_b32_e64 v29, v248, v250, s[78:79]                // 00000000632C: D100001D 013BF5F8
	v_perm_b32 v149, v29, v28, s64                             // 000000006334: D1ED0095 0102391D
	v_mfma_f32_16x16x16_bf16 v[80:83], v[104:105], a[140:141], v[80:83]// 00000000633C: D3E10050 15431968
	s_add_u32 s32, s66, s32                                    // 000000006344: 80202042
	s_addc_u32 s33, 0, s33                                     // 000000006348: 82212180
	v_mfma_f32_16x16x16_bf16 v[80:83], v[106:107], a[142:143], v[80:83]// 00000000634C: D3E10050 15431D6A
	s_waitcnt lgkmcnt(0)                                       // 000000006354: BF8CC07F
	s_barrier                                                  // 000000006358: BF8A0000
	v_mfma_f32_16x16x16_bf16 v[152:155], v[108:109], v[144:145], v[152:155]// 00000000635C: D3E10098 0663216C
	v_subrev_f32_dpp v72, v150, v72 quad_perm:[0,0,0,0] row_mask:0xf bank_mask:0xf// 000000006364: 069090FA FF000096
	v_subrev_f32_dpp v73, v150, v73 quad_perm:[1,1,1,1] row_mask:0xf bank_mask:0xf// 00000000636C: 069292FA FF005596
	v_subrev_f32_dpp v74, v150, v74 quad_perm:[2,2,2,2] row_mask:0xf bank_mask:0xf// 000000006374: 069494FA FF00AA96
	v_mfma_f32_16x16x16_bf16 v[156:159], v[110:111], v[144:145], v[156:159]// 00000000637C: D3E1009C 0673216E
	v_subrev_f32_dpp v75, v150, v75 quad_perm:[3,3,3,3] row_mask:0xf bank_mask:0xf// 000000006384: 069696FA FF00FF96
	v_subrev_f32_dpp v76, v150, v76 quad_perm:[0,0,0,0] row_mask:0xf bank_mask:0xf// 00000000638C: 069898FA FF000096
	v_subrev_f32_dpp v77, v150, v77 quad_perm:[1,1,1,1] row_mask:0xf bank_mask:0xf// 000000006394: 069A9AFA FF005596
	v_mfma_f32_16x16x16_bf16 v[160:163], v[112:113], v[144:145], v[160:163]// 00000000639C: D3E100A0 06832170
	v_mul_f32_e32 v72, v48, v72                                // 0000000063A4: 0A909130
	v_mul_f32_e32 v73, v49, v73                                // 0000000063A8: 0A929331
	v_mul_f32_e32 v74, v50, v74                                // 0000000063AC: 0A949532
	v_mfma_f32_16x16x16_bf16 v[164:167], v[114:115], v[144:145], v[164:167]// 0000000063B0: D3E100A4 06932172
	v_mul_f32_e32 v75, v51, v75                                // 0000000063B8: 0A969733
	v_mul_f32_e32 v76, v52, v76                                // 0000000063BC: 0A989934
	v_mul_f32_e32 v77, v53, v77                                // 0000000063C0: 0A9A9B35
	v_mfma_f32_16x16x16_bf16 v[168:171], v[116:117], v[144:145], v[168:171]// 0000000063C4: D3E100A8 06A32174
	v_cmp_u_f32_e64 s[78:79], v72, v72                         // 0000000063CC: D048004E 00029148
	v_add3_u32 v248, v72, v251, 1                              // 0000000063D4: D1FF00F8 0207F748
	v_cndmask_b32_e64 v28, v248, v250, s[78:79]                // 0000000063DC: D100001C 013BF5F8
	v_cmp_u_f32_e64 s[78:79], v73, v73                         // 0000000063E4: D048004E 00029349
	v_add3_u32 v248, v73, v251, 1                              // 0000000063EC: D1FF00F8 0207F749
	v_cndmask_b32_e64 v29, v248, v250, s[78:79]                // 0000000063F4: D100001D 013BF5F8
	v_perm_b32 v72, v29, v28, s64                              // 0000000063FC: D1ED0048 0102391D
	v_cmp_u_f32_e64 s[78:79], v74, v74                         // 000000006404: D048004E 0002954A
	v_add3_u32 v248, v74, v251, 1                              // 00000000640C: D1FF00F8 0207F74A
	v_cndmask_b32_e64 v28, v248, v250, s[78:79]                // 000000006414: D100001C 013BF5F8
	v_cmp_u_f32_e64 s[78:79], v75, v75                         // 00000000641C: D048004E 0002974B
	v_add3_u32 v248, v75, v251, 1                              // 000000006424: D1FF00F8 0207F74B
	v_cndmask_b32_e64 v29, v248, v250, s[78:79]                // 00000000642C: D100001D 013BF5F8
	v_perm_b32 v73, v29, v28, s64                              // 000000006434: D1ED0049 0102391D
	v_cmp_u_f32_e64 s[78:79], v76, v76                         // 00000000643C: D048004E 0002994C
	v_add3_u32 v248, v76, v251, 1                              // 000000006444: D1FF00F8 0207F74C
	v_cndmask_b32_e64 v28, v248, v250, s[78:79]                // 00000000644C: D100001C 013BF5F8
	v_cmp_u_f32_e64 s[78:79], v77, v77                         // 000000006454: D048004E 00029B4D
	v_add3_u32 v248, v77, v251, 1                              // 00000000645C: D1FF00F8 0207F74D
	v_cndmask_b32_e64 v29, v248, v250, s[78:79]                // 000000006464: D100001D 013BF5F8
	v_perm_b32 v74, v29, v28, s64                              // 00000000646C: D1ED004A 0102391D
	v_mfma_f32_16x16x16_bf16 v[172:175], v[118:119], v[144:145], v[172:175]// 000000006474: D3E100AC 06B32176
	v_mov_b32_dpp v16, v72 quad_perm:[1,0,3,2] row_mask:0xf bank_mask:0xf// 00000000647C: 7E2002FA FF00B148
	v_perm_b32 v48, v16, v72, v15                              // 000000006484: D1ED0030 043E9110
	v_mov_b32_dpp v16, v73 quad_perm:[1,0,3,2] row_mask:0xf bank_mask:0xf// 00000000648C: 7E2002FA FF00B149
	v_mfma_f32_16x16x16_bf16 v[176:179], v[120:121], v[144:145], v[176:179]// 000000006494: D3E100B0 06C32178
	v_perm_b32 v49, v16, v73, v15                              // 00000000649C: D1ED0031 043E9310
	v_mov_b32_dpp v16, v74 quad_perm:[1,0,3,2] row_mask:0xf bank_mask:0xf// 0000000064A4: 7E2002FA FF00B14A
	v_perm_b32 v50, v16, v74, v15                              // 0000000064AC: D1ED0032 043E9510
	v_mfma_f32_16x16x16_bf16 v[180:183], v[122:123], v[144:145], v[180:183]// 0000000064B4: D3E100B4 06D3217A
	ds_write_b32 v18, v48 offset:17408                         // 0000000064BC: D81A4400 00003012
	v_mfma_f32_16x16x16_bf16 v[184:187], v[108:109], v[146:147], v[184:187]// 0000000064C4: D3E100B8 06E3256C
	v_subrev_f32_dpp v78, v150, v78 quad_perm:[2,2,2,2] row_mask:0xf bank_mask:0xf// 0000000064CC: 069C9CFA FF00AA96
	v_subrev_f32_dpp v79, v150, v79 quad_perm:[3,3,3,3] row_mask:0xf bank_mask:0xf// 0000000064D4: 069E9EFA FF00FF96
	v_subrev_f32_dpp v80, v150, v80 quad_perm:[0,0,0,0] row_mask:0xf bank_mask:0xf// 0000000064DC: 06A0A0FA FF000096
	v_mfma_f32_16x16x16_bf16 v[188:191], v[110:111], v[146:147], v[188:191]// 0000000064E4: D3E100BC 06F3256E
	ds_write_b32 v18, v49 offset:17952                         // 0000000064EC: D81A4620 00003112
	v_mfma_f32_16x16x16_bf16 v[192:195], v[112:113], v[146:147], v[192:195]// 0000000064F4: D3E100C0 07032570
	v_subrev_f32_dpp v81, v150, v81 quad_perm:[1,1,1,1] row_mask:0xf bank_mask:0xf// 0000000064FC: 06A2A2FA FF005596
	v_subrev_f32_dpp v82, v150, v82 quad_perm:[2,2,2,2] row_mask:0xf bank_mask:0xf// 000000006504: 06A4A4FA FF00AA96
	v_subrev_f32_dpp v83, v150, v83 quad_perm:[3,3,3,3] row_mask:0xf bank_mask:0xf// 00000000650C: 06A6A6FA FF00FF96
	v_mfma_f32_16x16x16_bf16 v[196:199], v[114:115], v[146:147], v[196:199]// 000000006514: D3E100C4 07132572
	ds_write_b32 v18, v50 offset:19712                         // 00000000651C: D81A4D00 00003212
	v_mfma_f32_16x16x16_bf16 v[200:203], v[116:117], v[146:147], v[200:203]// 000000006524: D3E100C8 07232574
	v_mul_f32_e32 v78, v54, v78                                // 00000000652C: 0A9C9D36
	v_mul_f32_e32 v79, v55, v79                                // 000000006530: 0A9E9F37
	v_mul_f32_e32 v80, v56, v80                                // 000000006534: 0AA0A138
	v_mfma_f32_16x16x16_bf16 v[204:207], v[118:119], v[146:147], v[204:207]// 000000006538: D3E100CC 07332576
	v_mul_f32_e32 v81, v57, v81                                // 000000006540: 0AA2A339
	v_mul_f32_e32 v82, v58, v82                                // 000000006544: 0AA4A53A
	v_mul_f32_e32 v83, v59, v83                                // 000000006548: 0AA6A73B
	v_mfma_f32_16x16x16_bf16 v[208:211], v[120:121], v[146:147], v[208:211]// 00000000654C: D3E100D0 07432578
	v_cmp_u_f32_e64 s[78:79], v78, v78                         // 000000006554: D048004E 00029D4E
	v_add3_u32 v248, v78, v251, 1                              // 00000000655C: D1FF00F8 0207F74E
	v_cndmask_b32_e64 v28, v248, v250, s[78:79]                // 000000006564: D100001C 013BF5F8
	v_cmp_u_f32_e64 s[78:79], v79, v79                         // 00000000656C: D048004E 00029F4F
	v_add3_u32 v248, v79, v251, 1                              // 000000006574: D1FF00F8 0207F74F
	v_cndmask_b32_e64 v29, v248, v250, s[78:79]                // 00000000657C: D100001D 013BF5F8
	v_perm_b32 v75, v29, v28, s64                              // 000000006584: D1ED004B 0102391D
	v_cmp_u_f32_e64 s[78:79], v80, v80                         // 00000000658C: D048004E 0002A150
	v_add3_u32 v248, v80, v251, 1                              // 000000006594: D1FF00F8 0207F750
	v_cndmask_b32_e64 v28, v248, v250, s[78:79]                // 00000000659C: D100001C 013BF5F8
	v_cmp_u_f32_e64 s[78:79], v81, v81                         // 0000000065A4: D048004E 0002A351
	v_add3_u32 v248, v81, v251, 1                              // 0000000065AC: D1FF00F8 0207F751
	v_cndmask_b32_e64 v29, v248, v250, s[78:79]                // 0000000065B4: D100001D 013BF5F8
	v_perm_b32 v76, v29, v28, s64                              // 0000000065BC: D1ED004C 0102391D
	v_cmp_u_f32_e64 s[78:79], v82, v82                         // 0000000065C4: D048004E 0002A552
	v_add3_u32 v248, v82, v251, 1                              // 0000000065CC: D1FF00F8 0207F752
	v_cndmask_b32_e64 v28, v248, v250, s[78:79]                // 0000000065D4: D100001C 013BF5F8
	v_cmp_u_f32_e64 s[78:79], v83, v83                         // 0000000065DC: D048004E 0002A753
	v_add3_u32 v248, v83, v251, 1                              // 0000000065E4: D1FF00F8 0207F753
	v_cndmask_b32_e64 v29, v248, v250, s[78:79]                // 0000000065EC: D100001D 013BF5F8
	v_perm_b32 v77, v29, v28, s64                              // 0000000065F4: D1ED004D 0102391D
	v_mfma_f32_16x16x16_bf16 v[212:215], v[122:123], v[146:147], v[212:215]// 0000000065FC: D3E100D4 0753257A
	v_mov_b32_dpp v16, v75 quad_perm:[1,0,3,2] row_mask:0xf bank_mask:0xf// 000000006604: 7E2002FA FF00B14B
	v_perm_b32 v51, v16, v75, v15                              // 00000000660C: D1ED0033 043E9710
	v_mov_b32_dpp v16, v76 quad_perm:[1,0,3,2] row_mask:0xf bank_mask:0xf// 000000006614: 7E2002FA FF00B14C
	v_mfma_f32_16x16x16_bf16 v[216:219], v[108:109], v[148:149], v[216:219]// 00000000661C: D3E100D8 0763296C
	v_perm_b32 v52, v16, v76, v15                              // 000000006624: D1ED0034 043E9910
	v_mov_b32_dpp v16, v77 quad_perm:[1,0,3,2] row_mask:0xf bank_mask:0xf// 00000000662C: 7E2002FA FF00B14D
	v_perm_b32 v53, v16, v77, v15                              // 000000006634: D1ED0035 043E9B10
	v_mfma_f32_16x16x16_bf16 v[220:223], v[110:111], v[148:149], v[220:223]// 00000000663C: D3E100DC 0773296E
	ds_write_b32 v18, v51 offset:20256                         // 000000006644: D81A4F20 00003312
	v_mfma_f32_16x16x16_bf16 v[224:227], v[112:113], v[148:149], v[224:227]// 00000000664C: D3E100E0 07832970
	v_mfma_f32_16x16x16_bf16 v[228:231], v[114:115], v[148:149], v[228:231]// 000000006654: D3E100E4 07932972
	ds_write_b32 v18, v52 offset:22016                         // 00000000665C: D81A5600 00003412
	ds_write_b32 v18, v53 offset:22560                         // 000000006664: D81A5820 00003512
	v_mfma_f32_16x16x16_bf16 v[232:235], v[116:117], v[148:149], v[232:235]// 00000000666C: D3E100E8 07A32974
	v_mfma_f32_16x16x16_bf16 v[236:239], v[118:119], v[148:149], v[236:239]// 000000006674: D3E100EC 07B32976
	ds_write_b32 v13, v84 offset:4352                          // 00000000667C: D81A1100 0000540D
	ds_write_b32 v13, v85 offset:5408                          // 000000006684: D81A1520 0000550D
	v_mfma_f32_16x16x16_bf16 v[240:243], v[120:121], v[148:149], v[240:243]// 00000000668C: D3E100F0 07C32978
	s_nop 0                                                    // 000000006694: BF800000
	s_nop 0                                                    // 000000006698: BF800000
	s_nop 0                                                    // 00000000669C: BF800000
	v_mfma_f32_16x16x16_bf16 v[244:247], v[122:123], v[148:149], v[244:247]// 0000000066A0: D3E100F4 07D3297A
	ds_write_b32 v13, v86 offset:4480                          // 0000000066A8: D81A1180 0000560D
	ds_write_b32 v13, v87 offset:5536                          // 0000000066B0: D81A15A0 0000570D
	s_barrier                                                  // 0000000066B8: BF8A0000
	v_mfma_f32_16x16x16_bf16 a[160:163], a[144:145], v[72:73], a[160:163]// 0000000066BC: D3E180A0 0E829190
	buffer_atomic_add_f32 v136, v7, s[32:35], 0 idxen          // 0000000066C4: E1342000 80088807
	v_mfma_f32_16x16x16_bf16 a[164:167], a[146:147], v[72:73], a[164:167]// 0000000066CC: D3E180A4 0E929192
	ds_read_b32 v124, v21 offset:51200                         // 0000000066D4: D86CC800 7C000015
	ds_read_b32 v150, v21 offset:51456                         // 0000000066DC: D86CC900 96000015
	v_mfma_f32_16x16x16_bf16 a[168:171], a[148:149], v[72:73], a[168:171]// 0000000066E4: D3E180A8 0EA29194
	s_waitcnt lgkmcnt(6)                                       // 0000000066EC: BF8CC67F
	s_barrier                                                  // 0000000066F0: BF8A0000
	v_mfma_f32_16x16x16_bf16 a[172:175], a[150:151], v[72:73], a[172:175]// 0000000066F4: D3E180AC 0EB29196
	ds_read_b128 v[48:51], v17 offset:17408                    // 0000000066FC: D9FE4400 30000011
	v_mfma_f32_16x16x16_bf16 a[176:179], a[152:153], v[72:73], a[176:179]// 000000006704: D3E180B0 0EC29198
	v_mfma_f32_16x16x16_bf16 a[180:183], a[154:155], v[72:73], a[180:183]// 00000000670C: D3E180B4 0ED2919A
	ds_read_b128 v[52:55], v17 offset:18560                    // 000000006714: D9FE4880 34000011
	v_mfma_f32_16x16x16_bf16 a[184:187], a[156:157], v[72:73], a[184:187]// 00000000671C: D3E180B8 0EE2919C
	buffer_atomic_add_f32 v137, v8, s[32:35], 0 idxen          // 000000006724: E1342000 80088908
	v_mfma_f32_16x16x16_bf16 a[188:191], a[158:159], v[72:73], a[188:191]// 00000000672C: D3E180BC 0EF2919E
	ds_read_b128 v[56:59], v17 offset:19712                    // 000000006734: D9FE4D00 38000011
	v_mfma_f32_16x16x16_bf16 a[192:195], a[144:145], v[74:75], a[192:195]// 00000000673C: D3E180C0 0F029590
	v_mfma_f32_16x16x16_bf16 a[196:199], a[146:147], v[74:75], a[196:199]// 000000006744: D3E180C4 0F129592
	ds_read_b128 v[60:63], v17 offset:20864                    // 00000000674C: D9FE5180 3C000011
	v_mfma_f32_16x16x16_bf16 a[200:203], a[148:149], v[74:75], a[200:203]// 000000006754: D3E180C8 0F229594
	v_mfma_f32_16x16x16_bf16 a[204:207], a[150:151], v[74:75], a[204:207]// 00000000675C: D3E180CC 0F329596
	ds_read_b128 v[64:67], v17 offset:22016                    // 000000006764: D9FE5600 40000011
	v_mfma_f32_16x16x16_bf16 a[208:211], a[152:153], v[74:75], a[208:211]// 00000000676C: D3E180D0 0F429598
	buffer_atomic_add_f32 v138, v7, s[32:35], 0 idxen offset:128// 000000006774: E1342080 80088A07
	v_mfma_f32_16x16x16_bf16 a[212:215], a[154:155], v[74:75], a[212:215]// 00000000677C: D3E180D4 0F52959A
	ds_read_b128 v[68:71], v17 offset:23168                    // 000000006784: D9FE5A80 44000011
	v_mfma_f32_16x16x16_bf16 a[216:219], a[156:157], v[74:75], a[216:219]// 00000000678C: D3E180D8 0F62959C
	v_mfma_f32_16x16x16_bf16 a[220:223], a[158:159], v[74:75], a[220:223]// 000000006794: D3E180DC 0F72959E
	ds_write_b32 v13, v88 offset:13056                         // 00000000679C: D81A3300 0000580D
	v_mfma_f32_16x16x16_bf16 a[224:227], a[144:145], v[76:77], a[224:227]// 0000000067A4: D3E180E0 0F829990
	v_mfma_f32_16x16x16_bf16 a[228:231], a[146:147], v[76:77], a[228:231]// 0000000067AC: D3E180E4 0F929992
	ds_write_b32 v13, v89 offset:14112                         // 0000000067B4: D81A3720 0000590D
	v_mfma_f32_16x16x16_bf16 a[232:235], a[148:149], v[76:77], a[232:235]// 0000000067BC: D3E180E8 0FA29994
	buffer_atomic_add_f32 v139, v8, s[32:35], 0 idxen offset:128// 0000000067C4: E1342080 80088B08
	v_mfma_f32_16x16x16_bf16 a[236:239], a[150:151], v[76:77], a[236:239]// 0000000067CC: D3E180EC 0FB29996
	ds_write_b32 v13, v90 offset:13184                         // 0000000067D4: D81A3380 00005A0D
	v_mfma_f32_16x16x16_bf16 a[240:243], a[152:153], v[76:77], a[240:243]// 0000000067DC: D3E180F0 0FC29998
	v_mfma_f32_16x16x16_bf16 a[244:247], a[154:155], v[76:77], a[244:247]// 0000000067E4: D3E180F4 0FD2999A
	ds_write_b32 v13, v91 offset:14240                         // 0000000067EC: D81A37A0 00005B0D
	v_mfma_f32_16x16x16_bf16 a[248:251], a[156:157], v[76:77], a[248:251]// 0000000067F4: D3E180F8 0FE2999C
	v_mfma_f32_16x16x16_bf16 a[252:255], a[158:159], v[76:77], a[252:255]// 0000000067FC: D3E180FC 0FF2999E
	s_waitcnt vmcnt(8) lgkmcnt(4)                              // 000000006804: BF8C0478
	s_barrier                                                  // 000000006808: BF8A0000
	v_mfma_f32_16x16x16_bf16 v[128:131], v[48:49], a[48:49], 0 // 00000000680C: D3E10080 12026130
	v_mul_f32_e32 v124, s49, v124                              // 000000006814: 0AF8F831
	s_nop 0                                                    // 000000006818: BF800000
	v_mfma_f32_16x16x16_bf16 v[128:131], v[50:51], a[52:53], v[128:131]// 00000000681C: D3E10080 16026932
	ds_read_b128 a[144:147], v10                               // 000000006824: DBFE0000 9000000A
	buffer_load_dword v36, v1, s[8:11], 0 idxen                // 00000000682C: E0502000 80022401
	v_mfma_f32_16x16x16_bf16 v[128:131], v[52:53], a[56:57], v[128:131]// 000000006834: D3E10080 16027134
	v_mfma_f32_16x16x16_bf16 v[128:131], v[54:55], a[60:61], v[128:131]// 00000000683C: D3E10080 16027936
	ds_read_b128 a[148:151], v10 offset:512                    // 000000006844: DBFE0200 9400000A
	buffer_load_dword v37, v2, s[8:11], 0 idxen                // 00000000684C: E0502000 80022502
	v_mfma_f32_16x16x16_bf16 v[128:131], v[56:57], a[64:65], v[128:131]// 000000006854: D3E10080 16028138
	v_perm_b32 v84, v33, v32, s63                              // 00000000685C: D1ED0054 00FE4121
	v_perm_b32 v85, v33, v32, s64                              // 000000006864: D1ED0055 01024121
	v_mfma_f32_16x16x16_bf16 v[128:131], v[58:59], a[68:69], v[128:131]// 00000000686C: D3E10080 1602893A
	ds_read_b128 a[152:155], v10 offset:2176                   // 000000006874: DBFE0880 9800000A
	buffer_load_dword v38, v3, s[8:11], 0 idxen                // 00000000687C: E0502000 80022603
	v_mfma_f32_16x16x16_bf16 v[128:131], v[60:61], a[72:73], v[128:131]// 000000006884: D3E10080 1602913C
	v_perm_b32 v86, v35, v34, s63                              // 00000000688C: D1ED0056 00FE4523
	v_perm_b32 v87, v35, v34, s64                              // 000000006894: D1ED0057 01024523
	v_mfma_f32_16x16x16_bf16 v[128:131], v[62:63], a[76:77], v[128:131]// 00000000689C: D3E10080 1602993E
	ds_read_b128 a[156:159], v10 offset:2688                   // 0000000068A4: DBFE0A80 9C00000A
	buffer_load_dword v39, v4, s[8:11], 0 idxen                // 0000000068AC: E0502000 80022704
	v_mfma_f32_16x16x16_bf16 v[128:131], v[64:65], a[80:81], v[128:131]// 0000000068B4: D3E10080 1602A140
	v_perm_b32 v88, v41, v40, s63                              // 0000000068BC: D1ED0058 00FE5129
	v_perm_b32 v89, v41, v40, s64                              // 0000000068C4: D1ED0059 01025129
	v_mfma_f32_16x16x16_bf16 v[128:131], v[66:67], a[84:85], v[128:131]// 0000000068CC: D3E10080 1602A942
	ds_read_b128 v[92:95], v10 offset:8704                     // 0000000068D4: D9FE2200 5C00000A
	buffer_load_dword v44, v1, s[20:23], 0 idxen               // 0000000068DC: E0502000 80052C01
	v_mfma_f32_16x16x16_bf16 v[128:131], v[68:69], a[88:89], v[128:131]// 0000000068E4: D3E10080 1602B144
	v_perm_b32 v90, v43, v42, s63                              // 0000000068EC: D1ED005A 00FE552B
	v_perm_b32 v91, v43, v42, s64                              // 0000000068F4: D1ED005B 0102552B
	v_mfma_f32_16x16x16_bf16 v[128:131], v[70:71], a[92:93], v[128:131]// 0000000068FC: D3E10080 1602B946
	ds_read_b128 v[96:99], v10 offset:9216                     // 000000006904: D9FE2400 6000000A
	buffer_load_dword v45, v2, s[20:23], 0 idxen               // 00000000690C: E0502000 80052D02
	v_mfma_f32_16x16x16_bf16 v[132:135], v[48:49], a[50:51], 0 // 000000006914: D3E10084 12026530
	v_mov_b32_dpp v127, v124 quad_perm:[3,3,3,3] row_mask:0xf bank_mask:0xf// 00000000691C: 7EFE02FA FF00FF7C
	v_mov_b32_dpp v126, v124 quad_perm:[2,2,2,2] row_mask:0xf bank_mask:0xf// 000000006924: 7EFC02FA FF00AA7C
	v_mfma_f32_16x16x16_bf16 v[132:135], v[50:51], a[54:55], v[132:135]// 00000000692C: D3E10084 16126D32
	ds_read_b128 v[100:103], v10 offset:10880                  // 000000006934: D9FE2A80 6400000A
	buffer_load_dword v46, v3, s[20:23], 0 idxen               // 00000000693C: E0502000 80052E03
	v_mfma_f32_16x16x16_bf16 v[132:135], v[52:53], a[58:59], v[132:135]// 000000006944: D3E10084 16127534
	v_mov_b32_dpp v125, v124 quad_perm:[1,1,1,1] row_mask:0xf bank_mask:0xf// 00000000694C: 7EFA02FA FF00557C
	v_mov_b32_dpp v124, v124 quad_perm:[0,0,0,0] row_mask:0xf bank_mask:0xf// 000000006954: 7EF802FA FF00007C
	s_add_u32 s60, 64, s59                                     // 00000000695C: 803C3BC0
	v_mfma_f32_16x16x16_bf16 v[132:135], v[54:55], a[62:63], v[132:135]// 000000006960: D3E10084 16127D36
	ds_read_b128 v[104:107], v10 offset:11392                  // 000000006968: D9FE2C80 6800000A
	buffer_load_dword v47, v4, s[20:23], 0 idxen               // 000000006970: E0502000 80052F04
	v_mfma_f32_16x16x16_bf16 v[132:135], v[56:57], a[66:67], v[132:135]// 000000006978: D3E10084 16128538
	s_cmp_lt_u32 s60, s58                                      // 000000006980: BF0A3A3C
	s_cselect_b32 s68, s68, 0                                  // 000000006984: 85448044
	s_cselect_b32 s69, s69, 0                                  // 000000006988: 85458045
	v_mfma_f32_16x16x16_bf16 v[132:135], v[58:59], a[70:71], v[132:135]// 00000000698C: D3E10084 16128D3A
	buffer_load_dword v9, s[24:27], 0 idxen lds                // 000000006994: E0512000 80060009
	v_mfma_f32_16x16x16_bf16 v[132:135], v[60:61], a[74:75], v[132:135]// 00000000699C: D3E10084 1612953C
	s_add_u32 s8, s68, s8                                      // 0000000069A4: 80080844
	s_addc_u32 s9, 0, s9                                       // 0000000069A8: 82090980
	v_mfma_f32_16x16x16_bf16 v[132:135], v[62:63], a[78:79], v[132:135]// 0000000069AC: D3E10084 16129D3E
	s_add_u32 s20, s68, s20                                    // 0000000069B4: 80141444
	s_addc_u32 s21, 0, s21                                     // 0000000069B8: 82151580
	v_mfma_f32_16x16x16_bf16 v[132:135], v[64:65], a[82:83], v[132:135]// 0000000069BC: D3E10084 1612A540
	s_mov_b32 m0, s80                                          // 0000000069C4: BEFC0050
	v_add_u32_e32 v9, s69, v9                                  // 0000000069C8: 68121245
	v_mfma_f32_16x16x16_bf16 v[132:135], v[66:67], a[86:87], v[132:135]// 0000000069CC: D3E10084 1612AD42
	s_cmp_ge_u32 s59, s73                                      // 0000000069D4: BF09493B
	s_cselect_b32 s66, s67, s66                                // 0000000069D8: 85424243
	v_mfma_f32_16x16x16_bf16 v[132:135], v[68:69], a[90:91], v[132:135]// 0000000069DC: D3E10084 1612B544
	s_addk_i32 s59, 0x10                                       // 0000000069E4: B73B0010
	s_nop 0                                                    // 0000000069E8: BF800000
	s_cmp_lt_i32 s59, s58                                      // 0000000069EC: BF043A3B
	v_mfma_f32_16x16x16_bf16 v[132:135], v[70:71], a[94:95], v[132:135]// 0000000069F0: D3E10084 1612BD46
	s_cbranch_scc0 label_0E40                                  // 0000000069F8: BF840341
	s_waitcnt lgkmcnt(4)                                       // 0000000069FC: BF8CC47F
	s_barrier                                                  // 000000006A00: BF8A0000
	v_mfma_f32_16x16x16_bf16 v[48:51], a[144:145], a[0:1], 0   // 000000006A04: D3E10030 1A020190
	ds_write_b32 v11, v40 offset:8704                          // 000000006A0C: D81A2200 0000280B
	ds_write_b32 v11, v41 offset:9760                          // 000000006A14: D81A2620 0000290B
	v_mfma_f32_16x16x16_bf16 v[48:51], a[146:147], a[2:3], v[48:51]// 000000006A1C: D3E10030 1CC20592
	v_mul_f32_e32 v128, s48, v128                              // 000000006A24: 0B010030
	v_mul_f32_e32 v129, s48, v129                              // 000000006A28: 0B030230
	v_mfma_f32_16x16x16_bf16 v[48:51], a[148:149], a[4:5], v[48:51]// 000000006A2C: D3E10030 1CC20994
	ds_write_b32 v11, v42 offset:8832                          // 000000006A34: D81A2280 00002A0B
	ds_write_b32 v11, v43 offset:9888                          // 000000006A3C: D81A26A0 00002B0B
	v_mfma_f32_16x16x16_bf16 v[48:51], a[150:151], a[6:7], v[48:51]// 000000006A44: D3E10030 1CC20D96
	v_mul_f32_e32 v130, s48, v130                              // 000000006A4C: 0B050430
	v_mul_f32_e32 v131, s48, v131                              // 000000006A50: 0B070630
	v_mfma_f32_16x16x16_bf16 v[48:51], a[152:153], a[8:9], v[48:51]// 000000006A54: D3E10030 1CC21198
	ds_write_b64 v20, v[128:129] offset:24320                  // 000000006A5C: D89A5F00 00008014
	v_mfma_f32_16x16x16_bf16 v[48:51], a[154:155], a[10:11], v[48:51]// 000000006A64: D3E10030 1CC2159A
	v_mul_f32_e32 v132, s48, v132                              // 000000006A6C: 0B090830
	v_mul_f32_e32 v133, s48, v133                              // 000000006A70: 0B0B0A30
	v_mfma_f32_16x16x16_bf16 v[48:51], a[156:157], a[12:13], v[48:51]// 000000006A74: D3E10030 1CC2199C
	ds_write_b64 v20, v[130:131] offset:24832                  // 000000006A7C: D89A6100 00008214
	v_mfma_f32_16x16x16_bf16 v[48:51], a[158:159], a[14:15], v[48:51]// 000000006A84: D3E10030 1CC21D9E
	v_mul_f32_e32 v134, s48, v134                              // 000000006A8C: 0B0D0C30
	v_mul_f32_e32 v135, s48, v135                              // 000000006A90: 0B0F0E30
	v_mfma_f32_16x16x16_bf16 v[52:55], a[144:145], a[16:17], 0 // 000000006A94: D3E10034 1A022190
	ds_write_b64 v20, v[132:133] offset:25344                  // 000000006A9C: D89A6300 00008414
	v_mfma_f32_16x16x16_bf16 v[52:55], a[146:147], a[18:19], v[52:55]// 000000006AA4: D3E10034 1CD22592
	buffer_atomic_add_f32 v140, v7, s[32:35], 0 idxen offset:256// 000000006AAC: E1342100 80088C07
	v_mfma_f32_16x16x16_bf16 v[52:55], a[148:149], a[20:21], v[52:55]// 000000006AB4: D3E10034 1CD22994
	ds_write_b64 v20, v[134:135] offset:25856                  // 000000006ABC: D89A6500 00008614
	v_mfma_f32_16x16x16_bf16 v[52:55], a[150:151], a[22:23], v[52:55]// 000000006AC4: D3E10034 1CD22D96
	v_mfma_f32_16x16x16_bf16 v[52:55], a[152:153], a[24:25], v[52:55]// 000000006ACC: D3E10034 1CD23198
	ds_read_b128 v[108:111], v12 offset:13056                  // 000000006AD4: D9FE3300 6C00000C
	ds_write_b32 v11, v32                                      // 000000006ADC: D81A0000 0000200B
	v_mfma_f32_16x16x16_bf16 v[52:55], a[154:155], a[26:27], v[52:55]// 000000006AE4: D3E10034 1CD2359A
	buffer_atomic_add_f32 v141, v8, s[32:35], 0 idxen offset:256// 000000006AEC: E1342100 80088D08
	v_mfma_f32_16x16x16_bf16 v[52:55], a[156:157], a[28:29], v[52:55]// 000000006AF4: D3E10034 1CD2399C
	v_mfma_f32_16x16x16_bf16 v[52:55], a[158:159], a[30:31], v[52:55]// 000000006AFC: D3E10034 1CD23D9E
	ds_read_b128 v[112:115], v12 offset:13568                  // 000000006B04: D9FE3500 7000000C
	ds_write_b32 v11, v33 offset:1056                          // 000000006B0C: D81A0420 0000210B
	v_mfma_f32_16x16x16_bf16 v[56:59], a[144:145], a[32:33], 0 // 000000006B14: D3E10038 1A024190
	buffer_atomic_add_f32 v142, v7, s[32:35], 0 idxen offset:384// 000000006B1C: E1342180 80088E07
	v_mfma_f32_16x16x16_bf16 v[56:59], a[146:147], a[34:35], v[56:59]// 000000006B24: D3E10038 1CE24592
	v_mfma_f32_16x16x16_bf16 v[56:59], a[148:149], a[36:37], v[56:59]// 000000006B2C: D3E10038 1CE24994
	ds_read_b128 v[116:119], v12 offset:15232                  // 000000006B34: D9FE3B80 7400000C
	ds_write_b32 v11, v34 offset:128                           // 000000006B3C: D81A0080 0000220B
	v_mfma_f32_16x16x16_bf16 v[56:59], a[150:151], a[38:39], v[56:59]// 000000006B44: D3E10038 1CE24D96
	v_mfma_f32_16x16x16_bf16 v[56:59], a[152:153], a[40:41], v[56:59]// 000000006B4C: D3E10038 1CE25198
	buffer_atomic_add_f32 v143, v8, s[32:35], 0 idxen offset:384// 000000006B54: E1342180 80088F08
	v_mfma_f32_16x16x16_bf16 v[56:59], a[154:155], a[42:43], v[56:59]// 000000006B5C: D3E10038 1CE2559A
	ds_read_b128 v[120:123], v12 offset:15744                  // 000000006B64: D9FE3D80 7800000C
	ds_write_b32 v11, v35 offset:1184                          // 000000006B6C: D81A04A0 0000230B
	v_mfma_f32_16x16x16_bf16 v[56:59], a[156:157], a[44:45], v[56:59]// 000000006B74: D3E10038 1CE2599C
	v_mfma_f32_16x16x16_bf16 v[56:59], a[158:159], a[46:47], v[56:59]// 000000006B7C: D3E10038 1CE25D9E
	s_cmp_lt_i32 s74, 12                                       // 000000006B84: BF048C4A
	s_cbranch_scc0 label_0BD8                                  // 000000006B88: BF840075
	s_mov_b32 s60, 0xffe0fffe                                  // 000000006B8C: BEBC00FF FFE0FFFE
	s_mov_b32 s61, 0xe000fe00                                  // 000000006B94: BEBD00FF E000FE00
	s_nop 0                                                    // 000000006B9C: BF800000
	s_add_u32 s62, 0, s47                                      // 000000006BA0: 803E2F80
	s_cmp_lt_i32 s74, s62                                      // 000000006BA4: BF043E4A
	s_cbranch_scc1 label_0B93                                  // 000000006BA8: BF850028
	s_cmp_eq_i32 s74, s62                                      // 000000006BAC: BF003E4A
	s_cbranch_scc1 label_0B78                                  // 000000006BB0: BF85000B
	s_add_u32 s62, 4, s47                                      // 000000006BB4: 803E2F84
	s_cmp_lt_i32 s74, s62                                      // 000000006BB8: BF043E4A
	s_cbranch_scc1 label_0BB3                                  // 000000006BBC: BF850043
	s_cmp_eq_i32 s74, s62                                      // 000000006BC0: BF003E4A
	s_cbranch_scc1 label_0B98                                  // 000000006BC4: BF850026
	s_add_u32 s62, 8, s47                                      // 000000006BC8: 803E2F88
	s_cmp_lt_i32 s74, s62                                      // 000000006BCC: BF043E4A
	s_cbranch_scc1 label_0BD3                                  // 000000006BD0: BF85005E
	s_cmp_eq_i32 s74, s62                                      // 000000006BD4: BF003E4A
	s_cbranch_scc1 label_0BB8                                  // 000000006BD8: BF850041
	s_branch label_0BD8                                        // 000000006BDC: BF820060

0000000000006be0 <label_0B78>:
	v_cndmask_b32_e64 v48, v48, v151, s[60:61]                 // 000000006BE0: D1000030 00F32F30
	s_lshl_b32 s60, s60, 1                                     // 000000006BE8: 8E3C813C
	s_lshl_b32 s61, s61, 1                                     // 000000006BEC: 8E3D813D
	s_and_b32 s60, 0xfffeffff, s60                             // 000000006BF0: 863C3CFF FFFEFFFF
	s_and_b32 s61, 0xfffeffff, s61                             // 000000006BF8: 863D3DFF FFFEFFFF
	v_cndmask_b32_e64 v49, v49, v151, s[60:61]                 // 000000006C00: D1000031 00F32F31
	s_lshl_b32 s60, s60, 1                                     // 000000006C08: 8E3C813C
	s_lshl_b32 s61, s61, 1                                     // 000000006C0C: 8E3D813D
	s_and_b32 s60, 0xfffeffff, s60                             // 000000006C10: 863C3CFF FFFEFFFF
	s_and_b32 s61, 0xfffeffff, s61                             // 000000006C18: 863D3DFF FFFEFFFF
	v_cndmask_b32_e64 v50, v50, v151, s[60:61]                 // 000000006C20: D1000032 00F32F32
	s_lshl_b32 s60, s60, 1                                     // 000000006C28: 8E3C813C
	s_lshl_b32 s61, s61, 1                                     // 000000006C2C: 8E3D813D
	s_and_b32 s60, 0xfffeffff, s60                             // 000000006C30: 863C3CFF FFFEFFFF
	s_and_b32 s61, 0xfffeffff, s61                             // 000000006C38: 863D3DFF FFFEFFFF
	v_cndmask_b32_e64 v51, v51, v151, s[60:61]                 // 000000006C40: D1000033 00F32F33
	s_branch label_0BB3                                        // 000000006C48: BF820020

0000000000006c4c <label_0B93>:
	v_mov_b32_e32 v48, v151                                    // 000000006C4C: 7E600397
	v_mov_b32_e32 v49, v151                                    // 000000006C50: 7E620397
	v_mov_b32_e32 v50, v151                                    // 000000006C54: 7E640397
	v_mov_b32_e32 v51, v151                                    // 000000006C58: 7E660397
	s_branch label_0BB3                                        // 000000006C5C: BF82001B

0000000000006c60 <label_0B98>:
	v_cndmask_b32_e64 v52, v52, v151, s[60:61]                 // 000000006C60: D1000034 00F32F34
	s_lshl_b32 s60, s60, 1                                     // 000000006C68: 8E3C813C
	s_lshl_b32 s61, s61, 1                                     // 000000006C6C: 8E3D813D
	s_and_b32 s60, 0xfffeffff, s60                             // 000000006C70: 863C3CFF FFFEFFFF
	s_and_b32 s61, 0xfffeffff, s61                             // 000000006C78: 863D3DFF FFFEFFFF
	v_cndmask_b32_e64 v53, v53, v151, s[60:61]                 // 000000006C80: D1000035 00F32F35
	s_lshl_b32 s60, s60, 1                                     // 000000006C88: 8E3C813C
	s_lshl_b32 s61, s61, 1                                     // 000000006C8C: 8E3D813D
	s_and_b32 s60, 0xfffeffff, s60                             // 000000006C90: 863C3CFF FFFEFFFF
	s_and_b32 s61, 0xfffeffff, s61                             // 000000006C98: 863D3DFF FFFEFFFF
	v_cndmask_b32_e64 v54, v54, v151, s[60:61]                 // 000000006CA0: D1000036 00F32F36
	s_lshl_b32 s60, s60, 1                                     // 000000006CA8: 8E3C813C
	s_lshl_b32 s61, s61, 1                                     // 000000006CAC: 8E3D813D
	s_and_b32 s60, 0xfffeffff, s60                             // 000000006CB0: 863C3CFF FFFEFFFF
	s_and_b32 s61, 0xfffeffff, s61                             // 000000006CB8: 863D3DFF FFFEFFFF
	v_cndmask_b32_e64 v55, v55, v151, s[60:61]                 // 000000006CC0: D1000037 00F32F37
	s_branch label_0BD3                                        // 000000006CC8: BF820020

0000000000006ccc <label_0BB3>:
	v_mov_b32_e32 v52, v151                                    // 000000006CCC: 7E680397
	v_mov_b32_e32 v53, v151                                    // 000000006CD0: 7E6A0397
	v_mov_b32_e32 v54, v151                                    // 000000006CD4: 7E6C0397
	v_mov_b32_e32 v55, v151                                    // 000000006CD8: 7E6E0397
	s_branch label_0BD3                                        // 000000006CDC: BF82001B

0000000000006ce0 <label_0BB8>:
	v_cndmask_b32_e64 v56, v56, v151, s[60:61]                 // 000000006CE0: D1000038 00F32F38
	s_lshl_b32 s60, s60, 1                                     // 000000006CE8: 8E3C813C
	s_lshl_b32 s61, s61, 1                                     // 000000006CEC: 8E3D813D
	s_and_b32 s60, 0xfffeffff, s60                             // 000000006CF0: 863C3CFF FFFEFFFF
	s_and_b32 s61, 0xfffeffff, s61                             // 000000006CF8: 863D3DFF FFFEFFFF
	v_cndmask_b32_e64 v57, v57, v151, s[60:61]                 // 000000006D00: D1000039 00F32F39
	s_lshl_b32 s60, s60, 1                                     // 000000006D08: 8E3C813C
	s_lshl_b32 s61, s61, 1                                     // 000000006D0C: 8E3D813D
	s_and_b32 s60, 0xfffeffff, s60                             // 000000006D10: 863C3CFF FFFEFFFF
	s_and_b32 s61, 0xfffeffff, s61                             // 000000006D18: 863D3DFF FFFEFFFF
	v_cndmask_b32_e64 v58, v58, v151, s[60:61]                 // 000000006D20: D100003A 00F32F3A
	s_lshl_b32 s60, s60, 1                                     // 000000006D28: 8E3C813C
	s_lshl_b32 s61, s61, 1                                     // 000000006D2C: 8E3D813D
	s_and_b32 s60, 0xfffeffff, s60                             // 000000006D30: 863C3CFF FFFEFFFF
	s_and_b32 s61, 0xfffeffff, s61                             // 000000006D38: 863D3DFF FFFEFFFF
	v_cndmask_b32_e64 v59, v59, v151, s[60:61]                 // 000000006D40: D100003B 00F32F3B
	s_branch label_0BD8                                        // 000000006D48: BF820005

0000000000006d4c <label_0BD3>:
	v_mov_b32_e32 v56, v151                                    // 000000006D4C: 7E700397
	v_mov_b32_e32 v57, v151                                    // 000000006D50: 7E720397
	v_mov_b32_e32 v58, v151                                    // 000000006D54: 7E740397
	v_mov_b32_e32 v59, v151                                    // 000000006D58: 7E760397
	s_branch label_0BD8                                        // 000000006D5C: BF820000

0000000000006d60 <label_0BD8>:
	s_addk_i32 s74, 0x1                                        // 000000006D60: B74A0001
	s_waitcnt lgkmcnt(8)                                       // 000000006D64: BF8CC87F
	s_barrier                                                  // 000000006D68: BF8A0000
	v_mfma_f32_16x16x16_bf16 v[72:75], v[92:93], a[96:97], 0   // 000000006D6C: D3E10048 1202C15C
	ds_read_b128 a[144:147], v12 offset:4352                   // 000000006D74: DBFE1100 9000000C
	ds_read_b128 a[148:151], v12 offset:4864                   // 000000006D7C: DBFE1300 9400000C
	v_mfma_f32_16x16x16_bf16 v[72:75], v[94:95], a[98:99], v[72:75]// 000000006D84: D3E10048 1522C55E
	v_fma_f32 v48, v48, s57, -v124                             // 000000006D8C: D1CB0030 85F07330
	v_fma_f32 v49, v49, s57, -v125                             // 000000006D94: D1CB0031 85F47331
	v_fma_f32 v50, v50, s57, -v126                             // 000000006D9C: D1CB0032 85F87332
	v_mfma_f32_16x16x16_bf16 v[72:75], v[96:97], a[100:101], v[72:75]// 000000006DA4: D3E10048 1522C960
	v_fma_f32 v51, v51, s57, -v127                             // 000000006DAC: D1CB0033 85FC7333
	v_fma_f32 v52, v52, s57, -v124                             // 000000006DB4: D1CB0034 85F07334
	v_fma_f32 v53, v53, s57, -v125                             // 000000006DBC: D1CB0035 85F47335
	v_mfma_f32_16x16x16_bf16 v[72:75], v[98:99], a[102:103], v[72:75]// 000000006DC4: D3E10048 1522CD62
	v_fma_f32 v54, v54, s57, -v126                             // 000000006DCC: D1CB0036 85F87336
	v_fma_f32 v55, v55, s57, -v127                             // 000000006DD4: D1CB0037 85FC7337
	v_fma_f32 v56, v56, s57, -v124                             // 000000006DDC: D1CB0038 85F07338
	v_mfma_f32_16x16x16_bf16 v[72:75], v[100:101], a[104:105], v[72:75]// 000000006DE4: D3E10048 1522D164
	ds_read_b128 a[152:155], v12 offset:6528                   // 000000006DEC: DBFE1980 9800000C
	ds_read_b128 a[156:159], v12 offset:7040                   // 000000006DF4: DBFE1B80 9C00000C
	v_mfma_f32_16x16x16_bf16 v[72:75], v[102:103], a[106:107], v[72:75]// 000000006DFC: D3E10048 1522D566
	v_fma_f32 v57, v57, s57, -v125                             // 000000006E04: D1CB0039 85F47339
	v_fma_f32 v58, v58, s57, -v126                             // 000000006E0C: D1CB003A 85F8733A
	v_fma_f32 v59, v59, s57, -v127                             // 000000006E14: D1CB003B 85FC733B
	v_mfma_f32_16x16x16_bf16 v[72:75], v[104:105], a[108:109], v[72:75]// 000000006E1C: D3E10048 1522D968
	v_exp_f32_e32 v48, v48                                     // 000000006E24: 7E604130
	v_mfma_f32_16x16x16_bf16 v[72:75], v[106:107], a[110:111], v[72:75]// 000000006E28: D3E10048 1522DD6A
	v_exp_f32_e32 v49, v49                                     // 000000006E30: 7E624131
	v_mfma_f32_16x16x16_bf16 v[76:79], v[92:93], a[112:113], 0 // 000000006E34: D3E1004C 1202E15C
	ds_read_b64 v[136:137], v19 offset:24320                   // 000000006E3C: D8EC5F00 88000013
	ds_read_b64 v[138:139], v19 offset:26368                   // 000000006E44: D8EC6700 8A000013
	v_mfma_f32_16x16x16_bf16 v[76:79], v[94:95], a[114:115], v[76:79]// 000000006E4C: D3E1004C 1532E55E
	v_exp_f32_e32 v50, v50                                     // 000000006E54: 7E644132
	v_mfma_f32_16x16x16_bf16 v[76:79], v[96:97], a[116:117], v[76:79]// 000000006E58: D3E1004C 1532E960
	ds_read_b64 v[140:141], v19 offset:28416                   // 000000006E60: D8EC6F00 8C000013
	ds_read_b64 v[142:143], v19 offset:30464                   // 000000006E68: D8EC7700 8E000013
	v_mfma_f32_16x16x16_bf16 v[76:79], v[98:99], a[118:119], v[76:79]// 000000006E70: D3E1004C 1532ED62
	v_exp_f32_e32 v51, v51                                     // 000000006E78: 7E664133
	v_mfma_f32_16x16x16_bf16 v[76:79], v[100:101], a[120:121], v[76:79]// 000000006E7C: D3E1004C 1532F164
	v_exp_f32_e32 v52, v52                                     // 000000006E84: 7E684134
	v_mfma_f32_16x16x16_bf16 v[76:79], v[102:103], a[122:123], v[76:79]// 000000006E88: D3E1004C 1532F566
	v_exp_f32_e32 v53, v53                                     // 000000006E90: 7E6A4135
	v_mfma_f32_16x16x16_bf16 v[76:79], v[104:105], a[124:125], v[76:79]// 000000006E94: D3E1004C 1532F968
	v_exp_f32_e32 v54, v54                                     // 000000006E9C: 7E6C4136
	v_mfma_f32_16x16x16_bf16 v[76:79], v[106:107], a[126:127], v[76:79]// 000000006EA0: D3E1004C 1532FD6A
	v_exp_f32_e32 v55, v55                                     // 000000006EA8: 7E6E4137
	v_mfma_f32_16x16x16_bf16 v[80:83], v[92:93], a[128:129], 0 // 000000006EAC: D3E10050 1203015C
	v_exp_f32_e32 v56, v56                                     // 000000006EB4: 7E704138
	v_mfma_f32_16x16x16_bf16 v[80:83], v[94:95], a[130:131], v[80:83]// 000000006EB8: D3E10050 1543055E
	v_exp_f32_e32 v57, v57                                     // 000000006EC0: 7E724139
	v_mfma_f32_16x16x16_bf16 v[80:83], v[96:97], a[132:133], v[80:83]// 000000006EC4: D3E10050 15430960
	v_exp_f32_e32 v58, v58                                     // 000000006ECC: 7E74413A
	v_mfma_f32_16x16x16_bf16 v[80:83], v[98:99], a[134:135], v[80:83]// 000000006ED0: D3E10050 15430D62
	v_exp_f32_e32 v59, v59                                     // 000000006ED8: 7E76413B
	v_mfma_f32_16x16x16_bf16 v[80:83], v[100:101], a[136:137], v[80:83]// 000000006EDC: D3E10050 15431164
	v_cmp_u_f32_e64 s[78:79], v48, v48                         // 000000006EE4: D048004E 00026130
	v_add3_u32 v248, v48, v251, 1                              // 000000006EEC: D1FF00F8 0207F730
	v_cndmask_b32_e64 v28, v248, v250, s[78:79]                // 000000006EF4: D100001C 013BF5F8
	v_cmp_u_f32_e64 s[78:79], v49, v49                         // 000000006EFC: D048004E 00026331
	v_add3_u32 v248, v49, v251, 1                              // 000000006F04: D1FF00F8 0207F731
	v_cndmask_b32_e64 v29, v248, v250, s[78:79]                // 000000006F0C: D100001D 013BF5F8
	v_perm_b32 v144, v29, v28, s64                             // 000000006F14: D1ED0090 0102391D
	v_cmp_u_f32_e64 s[78:79], v50, v50                         // 000000006F1C: D048004E 00026532
	v_add3_u32 v248, v50, v251, 1                              // 000000006F24: D1FF00F8 0207F732
	v_cndmask_b32_e64 v28, v248, v250, s[78:79]                // 000000006F2C: D100001C 013BF5F8
	v_cmp_u_f32_e64 s[78:79], v51, v51                         // 000000006F34: D048004E 00026733
	v_add3_u32 v248, v51, v251, 1                              // 000000006F3C: D1FF00F8 0207F733
	v_cndmask_b32_e64 v29, v248, v250, s[78:79]                // 000000006F44: D100001D 013BF5F8
	v_perm_b32 v145, v29, v28, s64                             // 000000006F4C: D1ED0091 0102391D
	v_cmp_u_f32_e64 s[78:79], v52, v52                         // 000000006F54: D048004E 00026934
	v_add3_u32 v248, v52, v251, 1                              // 000000006F5C: D1FF00F8 0207F734
	v_cndmask_b32_e64 v28, v248, v250, s[78:79]                // 000000006F64: D100001C 013BF5F8
	v_cmp_u_f32_e64 s[78:79], v53, v53                         // 000000006F6C: D048004E 00026B35
	v_add3_u32 v248, v53, v251, 1                              // 000000006F74: D1FF00F8 0207F735
	v_cndmask_b32_e64 v29, v248, v250, s[78:79]                // 000000006F7C: D100001D 013BF5F8
	v_perm_b32 v146, v29, v28, s64                             // 000000006F84: D1ED0092 0102391D
	v_mfma_f32_16x16x16_bf16 v[80:83], v[102:103], a[138:139], v[80:83]// 000000006F8C: D3E10050 15431566
	v_cmp_u_f32_e64 s[78:79], v54, v54                         // 000000006F94: D048004E 00026D36
	v_add3_u32 v248, v54, v251, 1                              // 000000006F9C: D1FF00F8 0207F736
	v_cndmask_b32_e64 v28, v248, v250, s[78:79]                // 000000006FA4: D100001C 013BF5F8
	v_cmp_u_f32_e64 s[78:79], v55, v55                         // 000000006FAC: D048004E 00026F37
	v_add3_u32 v248, v55, v251, 1                              // 000000006FB4: D1FF00F8 0207F737
	v_cndmask_b32_e64 v29, v248, v250, s[78:79]                // 000000006FBC: D100001D 013BF5F8
	v_perm_b32 v147, v29, v28, s64                             // 000000006FC4: D1ED0093 0102391D
	v_cmp_u_f32_e64 s[78:79], v56, v56                         // 000000006FCC: D048004E 00027138
	v_add3_u32 v248, v56, v251, 1                              // 000000006FD4: D1FF00F8 0207F738
	v_cndmask_b32_e64 v28, v248, v250, s[78:79]                // 000000006FDC: D100001C 013BF5F8
	v_cmp_u_f32_e64 s[78:79], v57, v57                         // 000000006FE4: D048004E 00027339
	v_add3_u32 v248, v57, v251, 1                              // 000000006FEC: D1FF00F8 0207F739
	v_cndmask_b32_e64 v29, v248, v250, s[78:79]                // 000000006FF4: D100001D 013BF5F8
	v_perm_b32 v148, v29, v28, s64                             // 000000006FFC: D1ED0094 0102391D
	v_cmp_u_f32_e64 s[78:79], v58, v58                         // 000000007004: D048004E 0002753A
	v_add3_u32 v248, v58, v251, 1                              // 00000000700C: D1FF00F8 0207F73A
	v_cndmask_b32_e64 v28, v248, v250, s[78:79]                // 000000007014: D100001C 013BF5F8
	v_cmp_u_f32_e64 s[78:79], v59, v59                         // 00000000701C: D048004E 0002773B
	v_add3_u32 v248, v59, v251, 1                              // 000000007024: D1FF00F8 0207F73B
	v_cndmask_b32_e64 v29, v248, v250, s[78:79]                // 00000000702C: D100001D 013BF5F8
	v_perm_b32 v149, v29, v28, s64                             // 000000007034: D1ED0095 0102391D
	v_mfma_f32_16x16x16_bf16 v[80:83], v[104:105], a[140:141], v[80:83]// 00000000703C: D3E10050 15431968
	s_add_u32 s32, s66, s32                                    // 000000007044: 80202042
	s_addc_u32 s33, 0, s33                                     // 000000007048: 82212180
	v_mfma_f32_16x16x16_bf16 v[80:83], v[106:107], a[142:143], v[80:83]// 00000000704C: D3E10050 15431D6A
	s_waitcnt lgkmcnt(0)                                       // 000000007054: BF8CC07F
	s_barrier                                                  // 000000007058: BF8A0000
	v_mfma_f32_16x16x16_bf16 v[152:155], v[108:109], v[144:145], v[152:155]// 00000000705C: D3E10098 0663216C
	v_subrev_f32_dpp v72, v150, v72 quad_perm:[0,0,0,0] row_mask:0xf bank_mask:0xf// 000000007064: 069090FA FF000096
	v_subrev_f32_dpp v73, v150, v73 quad_perm:[1,1,1,1] row_mask:0xf bank_mask:0xf// 00000000706C: 069292FA FF005596
	v_subrev_f32_dpp v74, v150, v74 quad_perm:[2,2,2,2] row_mask:0xf bank_mask:0xf// 000000007074: 069494FA FF00AA96
	v_mfma_f32_16x16x16_bf16 v[156:159], v[110:111], v[144:145], v[156:159]// 00000000707C: D3E1009C 0673216E
	v_subrev_f32_dpp v75, v150, v75 quad_perm:[3,3,3,3] row_mask:0xf bank_mask:0xf// 000000007084: 069696FA FF00FF96
	v_subrev_f32_dpp v76, v150, v76 quad_perm:[0,0,0,0] row_mask:0xf bank_mask:0xf// 00000000708C: 069898FA FF000096
	v_subrev_f32_dpp v77, v150, v77 quad_perm:[1,1,1,1] row_mask:0xf bank_mask:0xf// 000000007094: 069A9AFA FF005596
	v_mfma_f32_16x16x16_bf16 v[160:163], v[112:113], v[144:145], v[160:163]// 00000000709C: D3E100A0 06832170
	v_mul_f32_e32 v72, v48, v72                                // 0000000070A4: 0A909130
	v_mul_f32_e32 v73, v49, v73                                // 0000000070A8: 0A929331
	v_mul_f32_e32 v74, v50, v74                                // 0000000070AC: 0A949532
	v_mfma_f32_16x16x16_bf16 v[164:167], v[114:115], v[144:145], v[164:167]// 0000000070B0: D3E100A4 06932172
	v_mul_f32_e32 v75, v51, v75                                // 0000000070B8: 0A969733
	v_mul_f32_e32 v76, v52, v76                                // 0000000070BC: 0A989934
	v_mul_f32_e32 v77, v53, v77                                // 0000000070C0: 0A9A9B35
	v_mfma_f32_16x16x16_bf16 v[168:171], v[116:117], v[144:145], v[168:171]// 0000000070C4: D3E100A8 06A32174
	v_cmp_u_f32_e64 s[78:79], v72, v72                         // 0000000070CC: D048004E 00029148
	v_add3_u32 v248, v72, v251, 1                              // 0000000070D4: D1FF00F8 0207F748
	v_cndmask_b32_e64 v28, v248, v250, s[78:79]                // 0000000070DC: D100001C 013BF5F8
	v_cmp_u_f32_e64 s[78:79], v73, v73                         // 0000000070E4: D048004E 00029349
	v_add3_u32 v248, v73, v251, 1                              // 0000000070EC: D1FF00F8 0207F749
	v_cndmask_b32_e64 v29, v248, v250, s[78:79]                // 0000000070F4: D100001D 013BF5F8
	v_perm_b32 v72, v29, v28, s64                              // 0000000070FC: D1ED0048 0102391D
	v_cmp_u_f32_e64 s[78:79], v74, v74                         // 000000007104: D048004E 0002954A
	v_add3_u32 v248, v74, v251, 1                              // 00000000710C: D1FF00F8 0207F74A
	v_cndmask_b32_e64 v28, v248, v250, s[78:79]                // 000000007114: D100001C 013BF5F8
	v_cmp_u_f32_e64 s[78:79], v75, v75                         // 00000000711C: D048004E 0002974B
	v_add3_u32 v248, v75, v251, 1                              // 000000007124: D1FF00F8 0207F74B
	v_cndmask_b32_e64 v29, v248, v250, s[78:79]                // 00000000712C: D100001D 013BF5F8
	v_perm_b32 v73, v29, v28, s64                              // 000000007134: D1ED0049 0102391D
	v_cmp_u_f32_e64 s[78:79], v76, v76                         // 00000000713C: D048004E 0002994C
	v_add3_u32 v248, v76, v251, 1                              // 000000007144: D1FF00F8 0207F74C
	v_cndmask_b32_e64 v28, v248, v250, s[78:79]                // 00000000714C: D100001C 013BF5F8
	v_cmp_u_f32_e64 s[78:79], v77, v77                         // 000000007154: D048004E 00029B4D
	v_add3_u32 v248, v77, v251, 1                              // 00000000715C: D1FF00F8 0207F74D
	v_cndmask_b32_e64 v29, v248, v250, s[78:79]                // 000000007164: D100001D 013BF5F8
	v_perm_b32 v74, v29, v28, s64                              // 00000000716C: D1ED004A 0102391D
	v_mfma_f32_16x16x16_bf16 v[172:175], v[118:119], v[144:145], v[172:175]// 000000007174: D3E100AC 06B32176
	v_mov_b32_dpp v16, v72 quad_perm:[1,0,3,2] row_mask:0xf bank_mask:0xf// 00000000717C: 7E2002FA FF00B148
	v_perm_b32 v48, v16, v72, v15                              // 000000007184: D1ED0030 043E9110
	v_mov_b32_dpp v16, v73 quad_perm:[1,0,3,2] row_mask:0xf bank_mask:0xf// 00000000718C: 7E2002FA FF00B149
	v_mfma_f32_16x16x16_bf16 v[176:179], v[120:121], v[144:145], v[176:179]// 000000007194: D3E100B0 06C32178
	v_perm_b32 v49, v16, v73, v15                              // 00000000719C: D1ED0031 043E9310
	v_mov_b32_dpp v16, v74 quad_perm:[1,0,3,2] row_mask:0xf bank_mask:0xf// 0000000071A4: 7E2002FA FF00B14A
	v_perm_b32 v50, v16, v74, v15                              // 0000000071AC: D1ED0032 043E9510
	v_mfma_f32_16x16x16_bf16 v[180:183], v[122:123], v[144:145], v[180:183]// 0000000071B4: D3E100B4 06D3217A
	ds_write_b32 v18, v48 offset:17408                         // 0000000071BC: D81A4400 00003012
	v_mfma_f32_16x16x16_bf16 v[184:187], v[108:109], v[146:147], v[184:187]// 0000000071C4: D3E100B8 06E3256C
	v_subrev_f32_dpp v78, v150, v78 quad_perm:[2,2,2,2] row_mask:0xf bank_mask:0xf// 0000000071CC: 069C9CFA FF00AA96
	v_subrev_f32_dpp v79, v150, v79 quad_perm:[3,3,3,3] row_mask:0xf bank_mask:0xf// 0000000071D4: 069E9EFA FF00FF96
	v_subrev_f32_dpp v80, v150, v80 quad_perm:[0,0,0,0] row_mask:0xf bank_mask:0xf// 0000000071DC: 06A0A0FA FF000096
	v_mfma_f32_16x16x16_bf16 v[188:191], v[110:111], v[146:147], v[188:191]// 0000000071E4: D3E100BC 06F3256E
	ds_write_b32 v18, v49 offset:17952                         // 0000000071EC: D81A4620 00003112
	v_mfma_f32_16x16x16_bf16 v[192:195], v[112:113], v[146:147], v[192:195]// 0000000071F4: D3E100C0 07032570
	v_subrev_f32_dpp v81, v150, v81 quad_perm:[1,1,1,1] row_mask:0xf bank_mask:0xf// 0000000071FC: 06A2A2FA FF005596
	v_subrev_f32_dpp v82, v150, v82 quad_perm:[2,2,2,2] row_mask:0xf bank_mask:0xf// 000000007204: 06A4A4FA FF00AA96
	v_subrev_f32_dpp v83, v150, v83 quad_perm:[3,3,3,3] row_mask:0xf bank_mask:0xf// 00000000720C: 06A6A6FA FF00FF96
	v_mfma_f32_16x16x16_bf16 v[196:199], v[114:115], v[146:147], v[196:199]// 000000007214: D3E100C4 07132572
	ds_write_b32 v18, v50 offset:19712                         // 00000000721C: D81A4D00 00003212
	v_mfma_f32_16x16x16_bf16 v[200:203], v[116:117], v[146:147], v[200:203]// 000000007224: D3E100C8 07232574
	v_mul_f32_e32 v78, v54, v78                                // 00000000722C: 0A9C9D36
	v_mul_f32_e32 v79, v55, v79                                // 000000007230: 0A9E9F37
	v_mul_f32_e32 v80, v56, v80                                // 000000007234: 0AA0A138
	v_mfma_f32_16x16x16_bf16 v[204:207], v[118:119], v[146:147], v[204:207]// 000000007238: D3E100CC 07332576
	v_mul_f32_e32 v81, v57, v81                                // 000000007240: 0AA2A339
	v_mul_f32_e32 v82, v58, v82                                // 000000007244: 0AA4A53A
	v_mul_f32_e32 v83, v59, v83                                // 000000007248: 0AA6A73B
	v_mfma_f32_16x16x16_bf16 v[208:211], v[120:121], v[146:147], v[208:211]// 00000000724C: D3E100D0 07432578
	v_cmp_u_f32_e64 s[78:79], v78, v78                         // 000000007254: D048004E 00029D4E
	v_add3_u32 v248, v78, v251, 1                              // 00000000725C: D1FF00F8 0207F74E
	v_cndmask_b32_e64 v28, v248, v250, s[78:79]                // 000000007264: D100001C 013BF5F8
	v_cmp_u_f32_e64 s[78:79], v79, v79                         // 00000000726C: D048004E 00029F4F
	v_add3_u32 v248, v79, v251, 1                              // 000000007274: D1FF00F8 0207F74F
	v_cndmask_b32_e64 v29, v248, v250, s[78:79]                // 00000000727C: D100001D 013BF5F8
	v_perm_b32 v75, v29, v28, s64                              // 000000007284: D1ED004B 0102391D
	v_cmp_u_f32_e64 s[78:79], v80, v80                         // 00000000728C: D048004E 0002A150
	v_add3_u32 v248, v80, v251, 1                              // 000000007294: D1FF00F8 0207F750
	v_cndmask_b32_e64 v28, v248, v250, s[78:79]                // 00000000729C: D100001C 013BF5F8
	v_cmp_u_f32_e64 s[78:79], v81, v81                         // 0000000072A4: D048004E 0002A351
	v_add3_u32 v248, v81, v251, 1                              // 0000000072AC: D1FF00F8 0207F751
	v_cndmask_b32_e64 v29, v248, v250, s[78:79]                // 0000000072B4: D100001D 013BF5F8
	v_perm_b32 v76, v29, v28, s64                              // 0000000072BC: D1ED004C 0102391D
	v_cmp_u_f32_e64 s[78:79], v82, v82                         // 0000000072C4: D048004E 0002A552
	v_add3_u32 v248, v82, v251, 1                              // 0000000072CC: D1FF00F8 0207F752
	v_cndmask_b32_e64 v28, v248, v250, s[78:79]                // 0000000072D4: D100001C 013BF5F8
	v_cmp_u_f32_e64 s[78:79], v83, v83                         // 0000000072DC: D048004E 0002A753
	v_add3_u32 v248, v83, v251, 1                              // 0000000072E4: D1FF00F8 0207F753
	v_cndmask_b32_e64 v29, v248, v250, s[78:79]                // 0000000072EC: D100001D 013BF5F8
	v_perm_b32 v77, v29, v28, s64                              // 0000000072F4: D1ED004D 0102391D
	v_mfma_f32_16x16x16_bf16 v[212:215], v[122:123], v[146:147], v[212:215]// 0000000072FC: D3E100D4 0753257A
	v_mov_b32_dpp v16, v75 quad_perm:[1,0,3,2] row_mask:0xf bank_mask:0xf// 000000007304: 7E2002FA FF00B14B
	v_perm_b32 v51, v16, v75, v15                              // 00000000730C: D1ED0033 043E9710
	v_mov_b32_dpp v16, v76 quad_perm:[1,0,3,2] row_mask:0xf bank_mask:0xf// 000000007314: 7E2002FA FF00B14C
	v_mfma_f32_16x16x16_bf16 v[216:219], v[108:109], v[148:149], v[216:219]// 00000000731C: D3E100D8 0763296C
	v_perm_b32 v52, v16, v76, v15                              // 000000007324: D1ED0034 043E9910
	v_mov_b32_dpp v16, v77 quad_perm:[1,0,3,2] row_mask:0xf bank_mask:0xf// 00000000732C: 7E2002FA FF00B14D
	v_perm_b32 v53, v16, v77, v15                              // 000000007334: D1ED0035 043E9B10
	v_mfma_f32_16x16x16_bf16 v[220:223], v[110:111], v[148:149], v[220:223]// 00000000733C: D3E100DC 0773296E
	ds_write_b32 v18, v51 offset:20256                         // 000000007344: D81A4F20 00003312
	v_mfma_f32_16x16x16_bf16 v[224:227], v[112:113], v[148:149], v[224:227]// 00000000734C: D3E100E0 07832970
	v_mfma_f32_16x16x16_bf16 v[228:231], v[114:115], v[148:149], v[228:231]// 000000007354: D3E100E4 07932972
	ds_write_b32 v18, v52 offset:22016                         // 00000000735C: D81A5600 00003412
	ds_write_b32 v18, v53 offset:22560                         // 000000007364: D81A5820 00003512
	v_mfma_f32_16x16x16_bf16 v[232:235], v[116:117], v[148:149], v[232:235]// 00000000736C: D3E100E8 07A32974
	v_mfma_f32_16x16x16_bf16 v[236:239], v[118:119], v[148:149], v[236:239]// 000000007374: D3E100EC 07B32976
	ds_write_b32 v13, v84 offset:4352                          // 00000000737C: D81A1100 0000540D
	ds_write_b32 v13, v85 offset:5408                          // 000000007384: D81A1520 0000550D
	v_mfma_f32_16x16x16_bf16 v[240:243], v[120:121], v[148:149], v[240:243]// 00000000738C: D3E100F0 07C32978
	s_nop 0                                                    // 000000007394: BF800000
	s_nop 0                                                    // 000000007398: BF800000
	s_nop 0                                                    // 00000000739C: BF800000
	v_mfma_f32_16x16x16_bf16 v[244:247], v[122:123], v[148:149], v[244:247]// 0000000073A0: D3E100F4 07D3297A
	ds_write_b32 v13, v86 offset:4480                          // 0000000073A8: D81A1180 0000560D
	ds_write_b32 v13, v87 offset:5536                          // 0000000073B0: D81A15A0 0000570D
	s_barrier                                                  // 0000000073B8: BF8A0000
	v_mfma_f32_16x16x16_bf16 a[160:163], a[144:145], v[72:73], a[160:163]// 0000000073BC: D3E180A0 0E829190
	buffer_atomic_add_f32 v136, v7, s[32:35], 0 idxen          // 0000000073C4: E1342000 80088807
	v_mfma_f32_16x16x16_bf16 a[164:167], a[146:147], v[72:73], a[164:167]// 0000000073CC: D3E180A4 0E929192
	ds_read_b32 v124, v21 offset:50688                         // 0000000073D4: D86CC600 7C000015
	ds_read_b32 v150, v21 offset:50944                         // 0000000073DC: D86CC700 96000015
	v_mfma_f32_16x16x16_bf16 a[168:171], a[148:149], v[72:73], a[168:171]// 0000000073E4: D3E180A8 0EA29194
	s_waitcnt lgkmcnt(6)                                       // 0000000073EC: BF8CC67F
	s_barrier                                                  // 0000000073F0: BF8A0000
	v_mfma_f32_16x16x16_bf16 a[172:175], a[150:151], v[72:73], a[172:175]// 0000000073F4: D3E180AC 0EB29196
	ds_read_b128 v[48:51], v17 offset:17408                    // 0000000073FC: D9FE4400 30000011
	v_mfma_f32_16x16x16_bf16 a[176:179], a[152:153], v[72:73], a[176:179]// 000000007404: D3E180B0 0EC29198
	v_mfma_f32_16x16x16_bf16 a[180:183], a[154:155], v[72:73], a[180:183]// 00000000740C: D3E180B4 0ED2919A
	ds_read_b128 v[52:55], v17 offset:18560                    // 000000007414: D9FE4880 34000011
	v_mfma_f32_16x16x16_bf16 a[184:187], a[156:157], v[72:73], a[184:187]// 00000000741C: D3E180B8 0EE2919C
	buffer_atomic_add_f32 v137, v8, s[32:35], 0 idxen          // 000000007424: E1342000 80088908
	v_mfma_f32_16x16x16_bf16 a[188:191], a[158:159], v[72:73], a[188:191]// 00000000742C: D3E180BC 0EF2919E
	ds_read_b128 v[56:59], v17 offset:19712                    // 000000007434: D9FE4D00 38000011
	v_mfma_f32_16x16x16_bf16 a[192:195], a[144:145], v[74:75], a[192:195]// 00000000743C: D3E180C0 0F029590
	v_mfma_f32_16x16x16_bf16 a[196:199], a[146:147], v[74:75], a[196:199]// 000000007444: D3E180C4 0F129592
	ds_read_b128 v[60:63], v17 offset:20864                    // 00000000744C: D9FE5180 3C000011
	v_mfma_f32_16x16x16_bf16 a[200:203], a[148:149], v[74:75], a[200:203]// 000000007454: D3E180C8 0F229594
	v_mfma_f32_16x16x16_bf16 a[204:207], a[150:151], v[74:75], a[204:207]// 00000000745C: D3E180CC 0F329596
	ds_read_b128 v[64:67], v17 offset:22016                    // 000000007464: D9FE5600 40000011
	v_mfma_f32_16x16x16_bf16 a[208:211], a[152:153], v[74:75], a[208:211]// 00000000746C: D3E180D0 0F429598
	buffer_atomic_add_f32 v138, v7, s[32:35], 0 idxen offset:128// 000000007474: E1342080 80088A07
	v_mfma_f32_16x16x16_bf16 a[212:215], a[154:155], v[74:75], a[212:215]// 00000000747C: D3E180D4 0F52959A
	ds_read_b128 v[68:71], v17 offset:23168                    // 000000007484: D9FE5A80 44000011
	v_mfma_f32_16x16x16_bf16 a[216:219], a[156:157], v[74:75], a[216:219]// 00000000748C: D3E180D8 0F62959C
	v_mfma_f32_16x16x16_bf16 a[220:223], a[158:159], v[74:75], a[220:223]// 000000007494: D3E180DC 0F72959E
	ds_write_b32 v13, v88 offset:13056                         // 00000000749C: D81A3300 0000580D
	v_mfma_f32_16x16x16_bf16 a[224:227], a[144:145], v[76:77], a[224:227]// 0000000074A4: D3E180E0 0F829990
	v_mfma_f32_16x16x16_bf16 a[228:231], a[146:147], v[76:77], a[228:231]// 0000000074AC: D3E180E4 0F929992
	ds_write_b32 v13, v89 offset:14112                         // 0000000074B4: D81A3720 0000590D
	v_mfma_f32_16x16x16_bf16 a[232:235], a[148:149], v[76:77], a[232:235]// 0000000074BC: D3E180E8 0FA29994
	buffer_atomic_add_f32 v139, v8, s[32:35], 0 idxen offset:128// 0000000074C4: E1342080 80088B08
	v_mfma_f32_16x16x16_bf16 a[236:239], a[150:151], v[76:77], a[236:239]// 0000000074CC: D3E180EC 0FB29996
	ds_write_b32 v13, v90 offset:13184                         // 0000000074D4: D81A3380 00005A0D
	v_mfma_f32_16x16x16_bf16 a[240:243], a[152:153], v[76:77], a[240:243]// 0000000074DC: D3E180F0 0FC29998
	v_mfma_f32_16x16x16_bf16 a[244:247], a[154:155], v[76:77], a[244:247]// 0000000074E4: D3E180F4 0FD2999A
	ds_write_b32 v13, v91 offset:14240                         // 0000000074EC: D81A37A0 00005B0D
	v_mfma_f32_16x16x16_bf16 a[248:251], a[156:157], v[76:77], a[248:251]// 0000000074F4: D3E180F8 0FE2999C
	v_mfma_f32_16x16x16_bf16 a[252:255], a[158:159], v[76:77], a[252:255]// 0000000074FC: D3E180FC 0FF2999E
	s_waitcnt vmcnt(8) lgkmcnt(4)                              // 000000007504: BF8C0478
	s_barrier                                                  // 000000007508: BF8A0000
	v_mfma_f32_16x16x16_bf16 v[128:131], v[48:49], a[48:49], 0 // 00000000750C: D3E10080 12026130
	v_mul_f32_e32 v124, s49, v124                              // 000000007514: 0AF8F831
	s_nop 0                                                    // 000000007518: BF800000
	v_mfma_f32_16x16x16_bf16 v[128:131], v[50:51], a[52:53], v[128:131]// 00000000751C: D3E10080 16026932
	ds_read_b128 a[144:147], v10                               // 000000007524: DBFE0000 9000000A
	buffer_load_dword v32, v1, s[8:11], 0 idxen                // 00000000752C: E0502000 80022001
	v_mfma_f32_16x16x16_bf16 v[128:131], v[52:53], a[56:57], v[128:131]// 000000007534: D3E10080 16027134
	v_mfma_f32_16x16x16_bf16 v[128:131], v[54:55], a[60:61], v[128:131]// 00000000753C: D3E10080 16027936
	ds_read_b128 a[148:151], v10 offset:512                    // 000000007544: DBFE0200 9400000A
	buffer_load_dword v33, v2, s[8:11], 0 idxen                // 00000000754C: E0502000 80022102
	v_mfma_f32_16x16x16_bf16 v[128:131], v[56:57], a[64:65], v[128:131]// 000000007554: D3E10080 16028138
	v_perm_b32 v84, v37, v36, s63                              // 00000000755C: D1ED0054 00FE4925
	v_perm_b32 v85, v37, v36, s64                              // 000000007564: D1ED0055 01024925
	v_mfma_f32_16x16x16_bf16 v[128:131], v[58:59], a[68:69], v[128:131]// 00000000756C: D3E10080 1602893A
	ds_read_b128 a[152:155], v10 offset:2176                   // 000000007574: DBFE0880 9800000A
	buffer_load_dword v34, v3, s[8:11], 0 idxen                // 00000000757C: E0502000 80022203
	v_mfma_f32_16x16x16_bf16 v[128:131], v[60:61], a[72:73], v[128:131]// 000000007584: D3E10080 1602913C
	v_perm_b32 v86, v39, v38, s63                              // 00000000758C: D1ED0056 00FE4D27
	v_perm_b32 v87, v39, v38, s64                              // 000000007594: D1ED0057 01024D27
	v_mfma_f32_16x16x16_bf16 v[128:131], v[62:63], a[76:77], v[128:131]// 00000000759C: D3E10080 1602993E
	ds_read_b128 a[156:159], v10 offset:2688                   // 0000000075A4: DBFE0A80 9C00000A
	buffer_load_dword v35, v4, s[8:11], 0 idxen                // 0000000075AC: E0502000 80022304
	v_mfma_f32_16x16x16_bf16 v[128:131], v[64:65], a[80:81], v[128:131]// 0000000075B4: D3E10080 1602A140
	v_perm_b32 v88, v45, v44, s63                              // 0000000075BC: D1ED0058 00FE592D
	v_perm_b32 v89, v45, v44, s64                              // 0000000075C4: D1ED0059 0102592D
	v_mfma_f32_16x16x16_bf16 v[128:131], v[66:67], a[84:85], v[128:131]// 0000000075CC: D3E10080 1602A942
	ds_read_b128 v[92:95], v10 offset:8704                     // 0000000075D4: D9FE2200 5C00000A
	buffer_load_dword v40, v1, s[20:23], 0 idxen               // 0000000075DC: E0502000 80052801
	v_mfma_f32_16x16x16_bf16 v[128:131], v[68:69], a[88:89], v[128:131]// 0000000075E4: D3E10080 1602B144
	v_perm_b32 v90, v47, v46, s63                              // 0000000075EC: D1ED005A 00FE5D2F
	v_perm_b32 v91, v47, v46, s64                              // 0000000075F4: D1ED005B 01025D2F
	v_mfma_f32_16x16x16_bf16 v[128:131], v[70:71], a[92:93], v[128:131]// 0000000075FC: D3E10080 1602B946
	ds_read_b128 v[96:99], v10 offset:9216                     // 000000007604: D9FE2400 6000000A
	buffer_load_dword v41, v2, s[20:23], 0 idxen               // 00000000760C: E0502000 80052902
	v_mfma_f32_16x16x16_bf16 v[132:135], v[48:49], a[50:51], 0 // 000000007614: D3E10084 12026530
	v_mov_b32_dpp v127, v124 quad_perm:[3,3,3,3] row_mask:0xf bank_mask:0xf// 00000000761C: 7EFE02FA FF00FF7C
	v_mov_b32_dpp v126, v124 quad_perm:[2,2,2,2] row_mask:0xf bank_mask:0xf// 000000007624: 7EFC02FA FF00AA7C
	v_mfma_f32_16x16x16_bf16 v[132:135], v[50:51], a[54:55], v[132:135]// 00000000762C: D3E10084 16126D32
	ds_read_b128 v[100:103], v10 offset:10880                  // 000000007634: D9FE2A80 6400000A
	buffer_load_dword v42, v3, s[20:23], 0 idxen               // 00000000763C: E0502000 80052A03
	v_mfma_f32_16x16x16_bf16 v[132:135], v[52:53], a[58:59], v[132:135]// 000000007644: D3E10084 16127534
	v_mov_b32_dpp v125, v124 quad_perm:[1,1,1,1] row_mask:0xf bank_mask:0xf// 00000000764C: 7EFA02FA FF00557C
	v_mov_b32_dpp v124, v124 quad_perm:[0,0,0,0] row_mask:0xf bank_mask:0xf// 000000007654: 7EF802FA FF00007C
	s_add_u32 s60, 64, s59                                     // 00000000765C: 803C3BC0
	v_mfma_f32_16x16x16_bf16 v[132:135], v[54:55], a[62:63], v[132:135]// 000000007660: D3E10084 16127D36
	ds_read_b128 v[104:107], v10 offset:11392                  // 000000007668: D9FE2C80 6800000A
	buffer_load_dword v43, v4, s[20:23], 0 idxen               // 000000007670: E0502000 80052B04
	v_mfma_f32_16x16x16_bf16 v[132:135], v[56:57], a[66:67], v[132:135]// 000000007678: D3E10084 16128538
	s_cmp_lt_u32 s60, s58                                      // 000000007680: BF0A3A3C
	s_cselect_b32 s68, s68, 0                                  // 000000007684: 85448044
	s_cselect_b32 s69, s69, 0                                  // 000000007688: 85458045
	v_mfma_f32_16x16x16_bf16 v[132:135], v[58:59], a[70:71], v[132:135]// 00000000768C: D3E10084 16128D3A
	buffer_load_dword v9, s[24:27], 0 idxen lds                // 000000007694: E0512000 80060009
	v_mfma_f32_16x16x16_bf16 v[132:135], v[60:61], a[74:75], v[132:135]// 00000000769C: D3E10084 1612953C
	s_add_u32 s8, s68, s8                                      // 0000000076A4: 80080844
	s_addc_u32 s9, 0, s9                                       // 0000000076A8: 82090980
	v_mfma_f32_16x16x16_bf16 v[132:135], v[62:63], a[78:79], v[132:135]// 0000000076AC: D3E10084 16129D3E
	s_add_u32 s20, s68, s20                                    // 0000000076B4: 80141444
	s_addc_u32 s21, 0, s21                                     // 0000000076B8: 82151580
	v_mfma_f32_16x16x16_bf16 v[132:135], v[64:65], a[82:83], v[132:135]// 0000000076BC: D3E10084 1612A540
	s_mov_b32 m0, s81                                          // 0000000076C4: BEFC0051
	v_add_u32_e32 v9, s69, v9                                  // 0000000076C8: 68121245
	v_mfma_f32_16x16x16_bf16 v[132:135], v[66:67], a[86:87], v[132:135]// 0000000076CC: D3E10084 1612AD42
	s_cmp_ge_u32 s59, s73                                      // 0000000076D4: BF09493B
	s_cselect_b32 s66, s67, s66                                // 0000000076D8: 85424243
	v_mfma_f32_16x16x16_bf16 v[132:135], v[68:69], a[90:91], v[132:135]// 0000000076DC: D3E10084 1612B544
	s_addk_i32 s59, 0x10                                       // 0000000076E4: B73B0010
	s_nop 0                                                    // 0000000076E8: BF800000
	s_cmp_lt_i32 s59, s58                                      // 0000000076EC: BF043A3B
	v_mfma_f32_16x16x16_bf16 v[132:135], v[70:71], a[94:95], v[132:135]// 0000000076F0: D3E10084 1612BD46
	s_cbranch_scc0 label_0E40                                  // 0000000076F8: BF840001
	s_branch label_07BF                                        // 0000000076FC: BF82F97F

0000000000007700 <label_0E40>:
	s_nop 0                                                    // 000000007700: BF800000
	s_nop 0                                                    // 000000007704: BF800000
	s_branch label_14C4                                        // 000000007708: BF820681

000000000000770c <label_0E43>:
	s_waitcnt lgkmcnt(4)                                       // 00000000770C: BF8CC47F
	s_barrier                                                  // 000000007710: BF8A0000
	v_mfma_f32_16x16x16_bf16 v[48:51], a[144:145], a[0:1], 0   // 000000007714: D3E10030 1A020190
	v_mul_f32_e32 v128, s48, v128                              // 00000000771C: 0B010030
	v_mul_f32_e32 v129, s48, v129                              // 000000007720: 0B030230
	v_mfma_f32_16x16x16_bf16 v[48:51], a[146:147], a[2:3], v[48:51]// 000000007724: D3E10030 1CC20592
	ds_write_b32 v11, v44 offset:8704                          // 00000000772C: D81A2200 00002C0B
	ds_write_b32 v11, v45 offset:9760                          // 000000007734: D81A2620 00002D0B
	v_mfma_f32_16x16x16_bf16 v[48:51], a[148:149], a[4:5], v[48:51]// 00000000773C: D3E10030 1CC20994
	v_mul_f32_e32 v130, s48, v130                              // 000000007744: 0B050430
	v_mul_f32_e32 v131, s48, v131                              // 000000007748: 0B070630
	v_mfma_f32_16x16x16_bf16 v[48:51], a[150:151], a[6:7], v[48:51]// 00000000774C: D3E10030 1CC20D96
	ds_write_b32 v11, v46 offset:8832                          // 000000007754: D81A2280 00002E0B
	ds_write_b32 v11, v47 offset:9888                          // 00000000775C: D81A26A0 00002F0B
	v_mfma_f32_16x16x16_bf16 v[48:51], a[152:153], a[8:9], v[48:51]// 000000007764: D3E10030 1CC21198
	v_mul_f32_e32 v132, s48, v132                              // 00000000776C: 0B090830
	v_mul_f32_e32 v133, s48, v133                              // 000000007770: 0B0B0A30
	v_mfma_f32_16x16x16_bf16 v[48:51], a[154:155], a[10:11], v[48:51]// 000000007774: D3E10030 1CC2159A
	ds_write_b64 v20, v[128:129] offset:24320                  // 00000000777C: D89A5F00 00008014
	v_mfma_f32_16x16x16_bf16 v[48:51], a[156:157], a[12:13], v[48:51]// 000000007784: D3E10030 1CC2199C
	v_mul_f32_e32 v134, s48, v134                              // 00000000778C: 0B0D0C30
	v_mul_f32_e32 v135, s48, v135                              // 000000007790: 0B0F0E30
	v_mfma_f32_16x16x16_bf16 v[48:51], a[158:159], a[14:15], v[48:51]// 000000007794: D3E10030 1CC21D9E
	ds_write_b64 v20, v[130:131] offset:24832                  // 00000000779C: D89A6100 00008214
	v_mfma_f32_16x16x16_bf16 v[52:55], a[144:145], a[16:17], 0 // 0000000077A4: D3E10034 1A022190
	buffer_atomic_add_f32 v140, v7, s[32:35], 0 idxen offset:256// 0000000077AC: E1342100 80088C07
	v_mfma_f32_16x16x16_bf16 v[52:55], a[146:147], a[18:19], v[52:55]// 0000000077B4: D3E10034 1CD22592
	ds_write_b64 v20, v[132:133] offset:25344                  // 0000000077BC: D89A6300 00008414
	v_mfma_f32_16x16x16_bf16 v[52:55], a[148:149], a[20:21], v[52:55]// 0000000077C4: D3E10034 1CD22994
	v_mfma_f32_16x16x16_bf16 v[52:55], a[150:151], a[22:23], v[52:55]// 0000000077CC: D3E10034 1CD22D96
	ds_write_b64 v20, v[134:135] offset:25856                  // 0000000077D4: D89A6500 00008614
	v_mfma_f32_16x16x16_bf16 v[52:55], a[152:153], a[24:25], v[52:55]// 0000000077DC: D3E10034 1CD23198
	buffer_atomic_add_f32 v141, v8, s[32:35], 0 idxen offset:256// 0000000077E4: E1342100 80088D08
	v_mfma_f32_16x16x16_bf16 v[52:55], a[154:155], a[26:27], v[52:55]// 0000000077EC: D3E10034 1CD2359A
	ds_read_b128 v[108:111], v12 offset:13056                  // 0000000077F4: D9FE3300 6C00000C
	ds_write_b32 v11, v36                                      // 0000000077FC: D81A0000 0000240B
	v_mfma_f32_16x16x16_bf16 v[52:55], a[156:157], a[28:29], v[52:55]// 000000007804: D3E10034 1CD2399C
	v_mfma_f32_16x16x16_bf16 v[52:55], a[158:159], a[30:31], v[52:55]// 00000000780C: D3E10034 1CD23D9E
	v_mfma_f32_16x16x16_bf16 v[56:59], a[144:145], a[32:33], 0 // 000000007814: D3E10038 1A024190
	ds_read_b128 v[112:115], v12 offset:13568                  // 00000000781C: D9FE3500 7000000C
	ds_write_b32 v11, v37 offset:1056                          // 000000007824: D81A0420 0000250B
	v_mfma_f32_16x16x16_bf16 v[56:59], a[146:147], a[34:35], v[56:59]// 00000000782C: D3E10038 1CE24592
	buffer_atomic_add_f32 v142, v7, s[32:35], 0 idxen offset:384// 000000007834: E1342180 80088E07
	v_mfma_f32_16x16x16_bf16 v[56:59], a[148:149], a[36:37], v[56:59]// 00000000783C: D3E10038 1CE24994
	v_mfma_f32_16x16x16_bf16 v[56:59], a[150:151], a[38:39], v[56:59]// 000000007844: D3E10038 1CE24D96
	ds_read_b128 v[116:119], v12 offset:15232                  // 00000000784C: D9FE3B80 7400000C
	ds_write_b32 v11, v38 offset:128                           // 000000007854: D81A0080 0000260B
	v_mfma_f32_16x16x16_bf16 v[56:59], a[152:153], a[40:41], v[56:59]// 00000000785C: D3E10038 1CE25198
	v_mfma_f32_16x16x16_bf16 v[56:59], a[154:155], a[42:43], v[56:59]// 000000007864: D3E10038 1CE2559A
	buffer_atomic_add_f32 v143, v8, s[32:35], 0 idxen offset:384// 00000000786C: E1342180 80088F08
	v_mfma_f32_16x16x16_bf16 v[56:59], a[156:157], a[44:45], v[56:59]// 000000007874: D3E10038 1CE2599C
	ds_read_b128 v[120:123], v12 offset:15744                  // 00000000787C: D9FE3D80 7800000C
	ds_write_b32 v11, v39 offset:1184                          // 000000007884: D81A04A0 0000270B
	v_mfma_f32_16x16x16_bf16 v[56:59], a[158:159], a[46:47], v[56:59]// 00000000788C: D3E10038 1CE25D9E
	s_cmp_lt_i32 s74, 12                                       // 000000007894: BF048C4A
	s_cbranch_scc0 label_0F1C                                  // 000000007898: BF840075
	s_mov_b32 s60, 0xffe0fffe                                  // 00000000789C: BEBC00FF FFE0FFFE
	s_mov_b32 s61, 0xe000fe00                                  // 0000000078A4: BEBD00FF E000FE00
	s_nop 0                                                    // 0000000078AC: BF800000
	s_add_u32 s62, 0, s47                                      // 0000000078B0: 803E2F80
	s_cmp_lt_i32 s74, s62                                      // 0000000078B4: BF043E4A
	s_cbranch_scc1 label_0ED7                                  // 0000000078B8: BF850028
	s_cmp_eq_i32 s74, s62                                      // 0000000078BC: BF003E4A
	s_cbranch_scc1 label_0EBC                                  // 0000000078C0: BF85000B
	s_add_u32 s62, 4, s47                                      // 0000000078C4: 803E2F84
	s_cmp_lt_i32 s74, s62                                      // 0000000078C8: BF043E4A
	s_cbranch_scc1 label_0EF7                                  // 0000000078CC: BF850043
	s_cmp_eq_i32 s74, s62                                      // 0000000078D0: BF003E4A
	s_cbranch_scc1 label_0EDC                                  // 0000000078D4: BF850026
	s_add_u32 s62, 8, s47                                      // 0000000078D8: 803E2F88
	s_cmp_lt_i32 s74, s62                                      // 0000000078DC: BF043E4A
	s_cbranch_scc1 label_0F17                                  // 0000000078E0: BF85005E
	s_cmp_eq_i32 s74, s62                                      // 0000000078E4: BF003E4A
	s_cbranch_scc1 label_0EFC                                  // 0000000078E8: BF850041
	s_branch label_0F1C                                        // 0000000078EC: BF820060

00000000000078f0 <label_0EBC>:
	v_cndmask_b32_e64 v48, v48, v151, s[60:61]                 // 0000000078F0: D1000030 00F32F30
	s_lshl_b32 s60, s60, 1                                     // 0000000078F8: 8E3C813C
	s_lshl_b32 s61, s61, 1                                     // 0000000078FC: 8E3D813D
	s_and_b32 s60, 0xfffeffff, s60                             // 000000007900: 863C3CFF FFFEFFFF
	s_and_b32 s61, 0xfffeffff, s61                             // 000000007908: 863D3DFF FFFEFFFF
	v_cndmask_b32_e64 v49, v49, v151, s[60:61]                 // 000000007910: D1000031 00F32F31
	s_lshl_b32 s60, s60, 1                                     // 000000007918: 8E3C813C
	s_lshl_b32 s61, s61, 1                                     // 00000000791C: 8E3D813D
	s_and_b32 s60, 0xfffeffff, s60                             // 000000007920: 863C3CFF FFFEFFFF
	s_and_b32 s61, 0xfffeffff, s61                             // 000000007928: 863D3DFF FFFEFFFF
	v_cndmask_b32_e64 v50, v50, v151, s[60:61]                 // 000000007930: D1000032 00F32F32
	s_lshl_b32 s60, s60, 1                                     // 000000007938: 8E3C813C
	s_lshl_b32 s61, s61, 1                                     // 00000000793C: 8E3D813D
	s_and_b32 s60, 0xfffeffff, s60                             // 000000007940: 863C3CFF FFFEFFFF
	s_and_b32 s61, 0xfffeffff, s61                             // 000000007948: 863D3DFF FFFEFFFF
	v_cndmask_b32_e64 v51, v51, v151, s[60:61]                 // 000000007950: D1000033 00F32F33
	s_branch label_0EF7                                        // 000000007958: BF820020

000000000000795c <label_0ED7>:
	v_mov_b32_e32 v48, v151                                    // 00000000795C: 7E600397
	v_mov_b32_e32 v49, v151                                    // 000000007960: 7E620397
	v_mov_b32_e32 v50, v151                                    // 000000007964: 7E640397
	v_mov_b32_e32 v51, v151                                    // 000000007968: 7E660397
	s_branch label_0EF7                                        // 00000000796C: BF82001B

0000000000007970 <label_0EDC>:
	v_cndmask_b32_e64 v52, v52, v151, s[60:61]                 // 000000007970: D1000034 00F32F34
	s_lshl_b32 s60, s60, 1                                     // 000000007978: 8E3C813C
	s_lshl_b32 s61, s61, 1                                     // 00000000797C: 8E3D813D
	s_and_b32 s60, 0xfffeffff, s60                             // 000000007980: 863C3CFF FFFEFFFF
	s_and_b32 s61, 0xfffeffff, s61                             // 000000007988: 863D3DFF FFFEFFFF
	v_cndmask_b32_e64 v53, v53, v151, s[60:61]                 // 000000007990: D1000035 00F32F35
	s_lshl_b32 s60, s60, 1                                     // 000000007998: 8E3C813C
	s_lshl_b32 s61, s61, 1                                     // 00000000799C: 8E3D813D
	s_and_b32 s60, 0xfffeffff, s60                             // 0000000079A0: 863C3CFF FFFEFFFF
	s_and_b32 s61, 0xfffeffff, s61                             // 0000000079A8: 863D3DFF FFFEFFFF
	v_cndmask_b32_e64 v54, v54, v151, s[60:61]                 // 0000000079B0: D1000036 00F32F36
	s_lshl_b32 s60, s60, 1                                     // 0000000079B8: 8E3C813C
	s_lshl_b32 s61, s61, 1                                     // 0000000079BC: 8E3D813D
	s_and_b32 s60, 0xfffeffff, s60                             // 0000000079C0: 863C3CFF FFFEFFFF
	s_and_b32 s61, 0xfffeffff, s61                             // 0000000079C8: 863D3DFF FFFEFFFF
	v_cndmask_b32_e64 v55, v55, v151, s[60:61]                 // 0000000079D0: D1000037 00F32F37
	s_branch label_0F17                                        // 0000000079D8: BF820020

00000000000079dc <label_0EF7>:
	v_mov_b32_e32 v52, v151                                    // 0000000079DC: 7E680397
	v_mov_b32_e32 v53, v151                                    // 0000000079E0: 7E6A0397
	v_mov_b32_e32 v54, v151                                    // 0000000079E4: 7E6C0397
	v_mov_b32_e32 v55, v151                                    // 0000000079E8: 7E6E0397
	s_branch label_0F17                                        // 0000000079EC: BF82001B

00000000000079f0 <label_0EFC>:
	v_cndmask_b32_e64 v56, v56, v151, s[60:61]                 // 0000000079F0: D1000038 00F32F38
	s_lshl_b32 s60, s60, 1                                     // 0000000079F8: 8E3C813C
	s_lshl_b32 s61, s61, 1                                     // 0000000079FC: 8E3D813D
	s_and_b32 s60, 0xfffeffff, s60                             // 000000007A00: 863C3CFF FFFEFFFF
	s_and_b32 s61, 0xfffeffff, s61                             // 000000007A08: 863D3DFF FFFEFFFF
	v_cndmask_b32_e64 v57, v57, v151, s[60:61]                 // 000000007A10: D1000039 00F32F39
	s_lshl_b32 s60, s60, 1                                     // 000000007A18: 8E3C813C
	s_lshl_b32 s61, s61, 1                                     // 000000007A1C: 8E3D813D
	s_and_b32 s60, 0xfffeffff, s60                             // 000000007A20: 863C3CFF FFFEFFFF
	s_and_b32 s61, 0xfffeffff, s61                             // 000000007A28: 863D3DFF FFFEFFFF
	v_cndmask_b32_e64 v58, v58, v151, s[60:61]                 // 000000007A30: D100003A 00F32F3A
	s_lshl_b32 s60, s60, 1                                     // 000000007A38: 8E3C813C
	s_lshl_b32 s61, s61, 1                                     // 000000007A3C: 8E3D813D
	s_and_b32 s60, 0xfffeffff, s60                             // 000000007A40: 863C3CFF FFFEFFFF
	s_and_b32 s61, 0xfffeffff, s61                             // 000000007A48: 863D3DFF FFFEFFFF
	v_cndmask_b32_e64 v59, v59, v151, s[60:61]                 // 000000007A50: D100003B 00F32F3B
	s_branch label_0F1C                                        // 000000007A58: BF820005

0000000000007a5c <label_0F17>:
	v_mov_b32_e32 v56, v151                                    // 000000007A5C: 7E700397
	v_mov_b32_e32 v57, v151                                    // 000000007A60: 7E720397
	v_mov_b32_e32 v58, v151                                    // 000000007A64: 7E740397
	v_mov_b32_e32 v59, v151                                    // 000000007A68: 7E760397
	s_branch label_0F1C                                        // 000000007A6C: BF820000

0000000000007a70 <label_0F1C>:
	s_addk_i32 s74, 0x1                                        // 000000007A70: B74A0001
	s_waitcnt lgkmcnt(8)                                       // 000000007A74: BF8CC87F
	s_barrier                                                  // 000000007A78: BF8A0000
	v_mfma_f32_16x16x16_bf16 v[72:75], v[92:93], a[96:97], 0   // 000000007A7C: D3E10048 1202C15C
	v_fma_f32 v48, v48, s57, -v124                             // 000000007A84: D1CB0030 85F07330
	v_fma_f32 v49, v49, s57, -v125                             // 000000007A8C: D1CB0031 85F47331
	v_fma_f32 v50, v50, s57, -v126                             // 000000007A94: D1CB0032 85F87332
	v_mfma_f32_16x16x16_bf16 v[72:75], v[94:95], a[98:99], v[72:75]// 000000007A9C: D3E10048 1522C55E
	ds_read_b128 a[144:147], v12 offset:4352                   // 000000007AA4: DBFE1100 9000000C
	ds_read_b128 a[148:151], v12 offset:4864                   // 000000007AAC: DBFE1300 9400000C
	v_mfma_f32_16x16x16_bf16 v[72:75], v[96:97], a[100:101], v[72:75]// 000000007AB4: D3E10048 1522C960
	v_fma_f32 v51, v51, s57, -v127                             // 000000007ABC: D1CB0033 85FC7333
	v_fma_f32 v52, v52, s57, -v124                             // 000000007AC4: D1CB0034 85F07334
	v_fma_f32 v53, v53, s57, -v125                             // 000000007ACC: D1CB0035 85F47335
	v_mfma_f32_16x16x16_bf16 v[72:75], v[98:99], a[102:103], v[72:75]// 000000007AD4: D3E10048 1522CD62
	v_fma_f32 v54, v54, s57, -v126                             // 000000007ADC: D1CB0036 85F87336
	v_fma_f32 v55, v55, s57, -v127                             // 000000007AE4: D1CB0037 85FC7337
	v_fma_f32 v56, v56, s57, -v124                             // 000000007AEC: D1CB0038 85F07338
	v_mfma_f32_16x16x16_bf16 v[72:75], v[100:101], a[104:105], v[72:75]// 000000007AF4: D3E10048 1522D164
	v_fma_f32 v57, v57, s57, -v125                             // 000000007AFC: D1CB0039 85F47339
	v_fma_f32 v58, v58, s57, -v126                             // 000000007B04: D1CB003A 85F8733A
	v_fma_f32 v59, v59, s57, -v127                             // 000000007B0C: D1CB003B 85FC733B
	v_mfma_f32_16x16x16_bf16 v[72:75], v[102:103], a[106:107], v[72:75]// 000000007B14: D3E10048 1522D566
	ds_read_b128 a[152:155], v12 offset:6528                   // 000000007B1C: DBFE1980 9800000C
	ds_read_b128 a[156:159], v12 offset:7040                   // 000000007B24: DBFE1B80 9C00000C
	v_mfma_f32_16x16x16_bf16 v[72:75], v[104:105], a[108:109], v[72:75]// 000000007B2C: D3E10048 1522D968
	v_exp_f32_e32 v48, v48                                     // 000000007B34: 7E604130
	v_mfma_f32_16x16x16_bf16 v[72:75], v[106:107], a[110:111], v[72:75]// 000000007B38: D3E10048 1522DD6A
	v_exp_f32_e32 v49, v49                                     // 000000007B40: 7E624131
	v_mfma_f32_16x16x16_bf16 v[76:79], v[92:93], a[112:113], 0 // 000000007B44: D3E1004C 1202E15C
	v_exp_f32_e32 v50, v50                                     // 000000007B4C: 7E644132
	v_mfma_f32_16x16x16_bf16 v[76:79], v[94:95], a[114:115], v[76:79]// 000000007B50: D3E1004C 1532E55E
	ds_read_b64 v[136:137], v19 offset:24320                   // 000000007B58: D8EC5F00 88000013
	ds_read_b64 v[138:139], v19 offset:26368                   // 000000007B60: D8EC6700 8A000013
	v_mfma_f32_16x16x16_bf16 v[76:79], v[96:97], a[116:117], v[76:79]// 000000007B68: D3E1004C 1532E960
	v_exp_f32_e32 v51, v51                                     // 000000007B70: 7E664133
	v_mfma_f32_16x16x16_bf16 v[76:79], v[98:99], a[118:119], v[76:79]// 000000007B74: D3E1004C 1532ED62
	ds_read_b64 v[140:141], v19 offset:28416                   // 000000007B7C: D8EC6F00 8C000013
	ds_read_b64 v[142:143], v19 offset:30464                   // 000000007B84: D8EC7700 8E000013
	v_mfma_f32_16x16x16_bf16 v[76:79], v[100:101], a[120:121], v[76:79]// 000000007B8C: D3E1004C 1532F164
	v_exp_f32_e32 v52, v52                                     // 000000007B94: 7E684134
	v_mfma_f32_16x16x16_bf16 v[76:79], v[102:103], a[122:123], v[76:79]// 000000007B98: D3E1004C 1532F566
	v_exp_f32_e32 v53, v53                                     // 000000007BA0: 7E6A4135
	v_mfma_f32_16x16x16_bf16 v[76:79], v[104:105], a[124:125], v[76:79]// 000000007BA4: D3E1004C 1532F968
	v_exp_f32_e32 v54, v54                                     // 000000007BAC: 7E6C4136
	v_mfma_f32_16x16x16_bf16 v[76:79], v[106:107], a[126:127], v[76:79]// 000000007BB0: D3E1004C 1532FD6A
	v_exp_f32_e32 v55, v55                                     // 000000007BB8: 7E6E4137
	v_mfma_f32_16x16x16_bf16 v[80:83], v[92:93], a[128:129], 0 // 000000007BBC: D3E10050 1203015C
	v_exp_f32_e32 v56, v56                                     // 000000007BC4: 7E704138
	v_mfma_f32_16x16x16_bf16 v[80:83], v[94:95], a[130:131], v[80:83]// 000000007BC8: D3E10050 1543055E
	v_exp_f32_e32 v57, v57                                     // 000000007BD0: 7E724139
	v_mfma_f32_16x16x16_bf16 v[80:83], v[96:97], a[132:133], v[80:83]// 000000007BD4: D3E10050 15430960
	v_exp_f32_e32 v58, v58                                     // 000000007BDC: 7E74413A
	v_mfma_f32_16x16x16_bf16 v[80:83], v[98:99], a[134:135], v[80:83]// 000000007BE0: D3E10050 15430D62
	v_exp_f32_e32 v59, v59                                     // 000000007BE8: 7E76413B
	v_mfma_f32_16x16x16_bf16 v[80:83], v[100:101], a[136:137], v[80:83]// 000000007BEC: D3E10050 15431164
	v_cmp_u_f32_e64 s[78:79], v48, v48                         // 000000007BF4: D048004E 00026130
	v_add3_u32 v248, v48, v251, 1                              // 000000007BFC: D1FF00F8 0207F730
	v_cndmask_b32_e64 v28, v248, v250, s[78:79]                // 000000007C04: D100001C 013BF5F8
	v_cmp_u_f32_e64 s[78:79], v49, v49                         // 000000007C0C: D048004E 00026331
	v_add3_u32 v248, v49, v251, 1                              // 000000007C14: D1FF00F8 0207F731
	v_cndmask_b32_e64 v29, v248, v250, s[78:79]                // 000000007C1C: D100001D 013BF5F8
	v_perm_b32 v144, v29, v28, s64                             // 000000007C24: D1ED0090 0102391D
	v_cmp_u_f32_e64 s[78:79], v50, v50                         // 000000007C2C: D048004E 00026532
	v_add3_u32 v248, v50, v251, 1                              // 000000007C34: D1FF00F8 0207F732
	v_cndmask_b32_e64 v28, v248, v250, s[78:79]                // 000000007C3C: D100001C 013BF5F8
	v_cmp_u_f32_e64 s[78:79], v51, v51                         // 000000007C44: D048004E 00026733
	v_add3_u32 v248, v51, v251, 1                              // 000000007C4C: D1FF00F8 0207F733
	v_cndmask_b32_e64 v29, v248, v250, s[78:79]                // 000000007C54: D100001D 013BF5F8
	v_perm_b32 v145, v29, v28, s64                             // 000000007C5C: D1ED0091 0102391D
	v_cmp_u_f32_e64 s[78:79], v52, v52                         // 000000007C64: D048004E 00026934
	v_add3_u32 v248, v52, v251, 1                              // 000000007C6C: D1FF00F8 0207F734
	v_cndmask_b32_e64 v28, v248, v250, s[78:79]                // 000000007C74: D100001C 013BF5F8
	v_cmp_u_f32_e64 s[78:79], v53, v53                         // 000000007C7C: D048004E 00026B35
	v_add3_u32 v248, v53, v251, 1                              // 000000007C84: D1FF00F8 0207F735
	v_cndmask_b32_e64 v29, v248, v250, s[78:79]                // 000000007C8C: D100001D 013BF5F8
	v_perm_b32 v146, v29, v28, s64                             // 000000007C94: D1ED0092 0102391D
	v_mfma_f32_16x16x16_bf16 v[80:83], v[102:103], a[138:139], v[80:83]// 000000007C9C: D3E10050 15431566
	v_cmp_u_f32_e64 s[78:79], v54, v54                         // 000000007CA4: D048004E 00026D36
	v_add3_u32 v248, v54, v251, 1                              // 000000007CAC: D1FF00F8 0207F736
	v_cndmask_b32_e64 v28, v248, v250, s[78:79]                // 000000007CB4: D100001C 013BF5F8
	v_cmp_u_f32_e64 s[78:79], v55, v55                         // 000000007CBC: D048004E 00026F37
	v_add3_u32 v248, v55, v251, 1                              // 000000007CC4: D1FF00F8 0207F737
	v_cndmask_b32_e64 v29, v248, v250, s[78:79]                // 000000007CCC: D100001D 013BF5F8
	v_perm_b32 v147, v29, v28, s64                             // 000000007CD4: D1ED0093 0102391D
	v_cmp_u_f32_e64 s[78:79], v56, v56                         // 000000007CDC: D048004E 00027138
	v_add3_u32 v248, v56, v251, 1                              // 000000007CE4: D1FF00F8 0207F738
	v_cndmask_b32_e64 v28, v248, v250, s[78:79]                // 000000007CEC: D100001C 013BF5F8
	v_cmp_u_f32_e64 s[78:79], v57, v57                         // 000000007CF4: D048004E 00027339
	v_add3_u32 v248, v57, v251, 1                              // 000000007CFC: D1FF00F8 0207F739
	v_cndmask_b32_e64 v29, v248, v250, s[78:79]                // 000000007D04: D100001D 013BF5F8
	v_perm_b32 v148, v29, v28, s64                             // 000000007D0C: D1ED0094 0102391D
	v_cmp_u_f32_e64 s[78:79], v58, v58                         // 000000007D14: D048004E 0002753A
	v_add3_u32 v248, v58, v251, 1                              // 000000007D1C: D1FF00F8 0207F73A
	v_cndmask_b32_e64 v28, v248, v250, s[78:79]                // 000000007D24: D100001C 013BF5F8
	v_cmp_u_f32_e64 s[78:79], v59, v59                         // 000000007D2C: D048004E 0002773B
	v_add3_u32 v248, v59, v251, 1                              // 000000007D34: D1FF00F8 0207F73B
	v_cndmask_b32_e64 v29, v248, v250, s[78:79]                // 000000007D3C: D100001D 013BF5F8
	v_perm_b32 v149, v29, v28, s64                             // 000000007D44: D1ED0095 0102391D
	v_mfma_f32_16x16x16_bf16 v[80:83], v[104:105], a[140:141], v[80:83]// 000000007D4C: D3E10050 15431968
	s_add_u32 s32, s66, s32                                    // 000000007D54: 80202042
	s_addc_u32 s33, 0, s33                                     // 000000007D58: 82212180
	v_mfma_f32_16x16x16_bf16 v[80:83], v[106:107], a[142:143], v[80:83]// 000000007D5C: D3E10050 15431D6A
	s_waitcnt lgkmcnt(0)                                       // 000000007D64: BF8CC07F
	s_barrier                                                  // 000000007D68: BF8A0000
	v_mfma_f32_16x16x16_bf16 v[152:155], v[108:109], v[144:145], v[152:155]// 000000007D6C: D3E10098 0663216C
	v_subrev_f32_dpp v72, v150, v72 quad_perm:[0,0,0,0] row_mask:0xf bank_mask:0xf// 000000007D74: 069090FA FF000096
	v_subrev_f32_dpp v73, v150, v73 quad_perm:[1,1,1,1] row_mask:0xf bank_mask:0xf// 000000007D7C: 069292FA FF005596
	v_subrev_f32_dpp v74, v150, v74 quad_perm:[2,2,2,2] row_mask:0xf bank_mask:0xf// 000000007D84: 069494FA FF00AA96
	v_mfma_f32_16x16x16_bf16 v[156:159], v[110:111], v[144:145], v[156:159]// 000000007D8C: D3E1009C 0673216E
	v_subrev_f32_dpp v75, v150, v75 quad_perm:[3,3,3,3] row_mask:0xf bank_mask:0xf// 000000007D94: 069696FA FF00FF96
	v_subrev_f32_dpp v76, v150, v76 quad_perm:[0,0,0,0] row_mask:0xf bank_mask:0xf// 000000007D9C: 069898FA FF000096
	v_subrev_f32_dpp v77, v150, v77 quad_perm:[1,1,1,1] row_mask:0xf bank_mask:0xf// 000000007DA4: 069A9AFA FF005596
	v_mfma_f32_16x16x16_bf16 v[160:163], v[112:113], v[144:145], v[160:163]// 000000007DAC: D3E100A0 06832170
	v_mul_f32_e32 v72, v48, v72                                // 000000007DB4: 0A909130
	v_mul_f32_e32 v73, v49, v73                                // 000000007DB8: 0A929331
	v_mul_f32_e32 v74, v50, v74                                // 000000007DBC: 0A949532
	v_mfma_f32_16x16x16_bf16 v[164:167], v[114:115], v[144:145], v[164:167]// 000000007DC0: D3E100A4 06932172
	v_mul_f32_e32 v75, v51, v75                                // 000000007DC8: 0A969733
	v_mul_f32_e32 v76, v52, v76                                // 000000007DCC: 0A989934
	v_mul_f32_e32 v77, v53, v77                                // 000000007DD0: 0A9A9B35
	v_mfma_f32_16x16x16_bf16 v[168:171], v[116:117], v[144:145], v[168:171]// 000000007DD4: D3E100A8 06A32174
	v_cmp_u_f32_e64 s[78:79], v72, v72                         // 000000007DDC: D048004E 00029148
	v_add3_u32 v248, v72, v251, 1                              // 000000007DE4: D1FF00F8 0207F748
	v_cndmask_b32_e64 v28, v248, v250, s[78:79]                // 000000007DEC: D100001C 013BF5F8
	v_cmp_u_f32_e64 s[78:79], v73, v73                         // 000000007DF4: D048004E 00029349
	v_add3_u32 v248, v73, v251, 1                              // 000000007DFC: D1FF00F8 0207F749
	v_cndmask_b32_e64 v29, v248, v250, s[78:79]                // 000000007E04: D100001D 013BF5F8
	v_perm_b32 v72, v29, v28, s64                              // 000000007E0C: D1ED0048 0102391D
	v_cmp_u_f32_e64 s[78:79], v74, v74                         // 000000007E14: D048004E 0002954A
	v_add3_u32 v248, v74, v251, 1                              // 000000007E1C: D1FF00F8 0207F74A
	v_cndmask_b32_e64 v28, v248, v250, s[78:79]                // 000000007E24: D100001C 013BF5F8
	v_cmp_u_f32_e64 s[78:79], v75, v75                         // 000000007E2C: D048004E 0002974B
	v_add3_u32 v248, v75, v251, 1                              // 000000007E34: D1FF00F8 0207F74B
	v_cndmask_b32_e64 v29, v248, v250, s[78:79]                // 000000007E3C: D100001D 013BF5F8
	v_perm_b32 v73, v29, v28, s64                              // 000000007E44: D1ED0049 0102391D
	v_cmp_u_f32_e64 s[78:79], v76, v76                         // 000000007E4C: D048004E 0002994C
	v_add3_u32 v248, v76, v251, 1                              // 000000007E54: D1FF00F8 0207F74C
	v_cndmask_b32_e64 v28, v248, v250, s[78:79]                // 000000007E5C: D100001C 013BF5F8
	v_cmp_u_f32_e64 s[78:79], v77, v77                         // 000000007E64: D048004E 00029B4D
	v_add3_u32 v248, v77, v251, 1                              // 000000007E6C: D1FF00F8 0207F74D
	v_cndmask_b32_e64 v29, v248, v250, s[78:79]                // 000000007E74: D100001D 013BF5F8
	v_perm_b32 v74, v29, v28, s64                              // 000000007E7C: D1ED004A 0102391D
	v_mfma_f32_16x16x16_bf16 v[172:175], v[118:119], v[144:145], v[172:175]// 000000007E84: D3E100AC 06B32176
	v_mov_b32_dpp v16, v72 quad_perm:[1,0,3,2] row_mask:0xf bank_mask:0xf// 000000007E8C: 7E2002FA FF00B148
	v_perm_b32 v48, v16, v72, v15                              // 000000007E94: D1ED0030 043E9110
	v_mov_b32_dpp v16, v73 quad_perm:[1,0,3,2] row_mask:0xf bank_mask:0xf// 000000007E9C: 7E2002FA FF00B149
	v_mfma_f32_16x16x16_bf16 v[176:179], v[120:121], v[144:145], v[176:179]// 000000007EA4: D3E100B0 06C32178
	ds_write_b32 v18, v48 offset:17408                         // 000000007EAC: D81A4400 00003012
	v_mfma_f32_16x16x16_bf16 v[180:183], v[122:123], v[144:145], v[180:183]// 000000007EB4: D3E100B4 06D3217A
	v_perm_b32 v49, v16, v73, v15                              // 000000007EBC: D1ED0031 043E9310
	v_mov_b32_dpp v16, v74 quad_perm:[1,0,3,2] row_mask:0xf bank_mask:0xf// 000000007EC4: 7E2002FA FF00B14A
	v_perm_b32 v50, v16, v74, v15                              // 000000007ECC: D1ED0032 043E9510
	v_mfma_f32_16x16x16_bf16 v[184:187], v[108:109], v[146:147], v[184:187]// 000000007ED4: D3E100B8 06E3256C
	ds_write_b32 v18, v49 offset:17952                         // 000000007EDC: D81A4620 00003112
	v_mfma_f32_16x16x16_bf16 v[188:191], v[110:111], v[146:147], v[188:191]// 000000007EE4: D3E100BC 06F3256E
	v_subrev_f32_dpp v78, v150, v78 quad_perm:[2,2,2,2] row_mask:0xf bank_mask:0xf// 000000007EEC: 069C9CFA FF00AA96
	v_subrev_f32_dpp v79, v150, v79 quad_perm:[3,3,3,3] row_mask:0xf bank_mask:0xf// 000000007EF4: 069E9EFA FF00FF96
	v_subrev_f32_dpp v80, v150, v80 quad_perm:[0,0,0,0] row_mask:0xf bank_mask:0xf// 000000007EFC: 06A0A0FA FF000096
	v_mfma_f32_16x16x16_bf16 v[192:195], v[112:113], v[146:147], v[192:195]// 000000007F04: D3E100C0 07032570
	ds_write_b32 v18, v50 offset:19712                         // 000000007F0C: D81A4D00 00003212
	v_mfma_f32_16x16x16_bf16 v[196:199], v[114:115], v[146:147], v[196:199]// 000000007F14: D3E100C4 07132572
	v_subrev_f32_dpp v81, v150, v81 quad_perm:[1,1,1,1] row_mask:0xf bank_mask:0xf// 000000007F1C: 06A2A2FA FF005596
	v_subrev_f32_dpp v82, v150, v82 quad_perm:[2,2,2,2] row_mask:0xf bank_mask:0xf// 000000007F24: 06A4A4FA FF00AA96
	v_subrev_f32_dpp v83, v150, v83 quad_perm:[3,3,3,3] row_mask:0xf bank_mask:0xf// 000000007F2C: 06A6A6FA FF00FF96
	v_mfma_f32_16x16x16_bf16 v[200:203], v[116:117], v[146:147], v[200:203]// 000000007F34: D3E100C8 07232574
	v_mul_f32_e32 v78, v54, v78                                // 000000007F3C: 0A9C9D36
	v_mul_f32_e32 v79, v55, v79                                // 000000007F40: 0A9E9F37
	v_mul_f32_e32 v80, v56, v80                                // 000000007F44: 0AA0A138
	v_mfma_f32_16x16x16_bf16 v[204:207], v[118:119], v[146:147], v[204:207]// 000000007F48: D3E100CC 07332576
	v_mul_f32_e32 v81, v57, v81                                // 000000007F50: 0AA2A339
	v_mul_f32_e32 v82, v58, v82                                // 000000007F54: 0AA4A53A
	v_mul_f32_e32 v83, v59, v83                                // 000000007F58: 0AA6A73B
	v_mfma_f32_16x16x16_bf16 v[208:211], v[120:121], v[146:147], v[208:211]// 000000007F5C: D3E100D0 07432578
	v_cmp_u_f32_e64 s[78:79], v78, v78                         // 000000007F64: D048004E 00029D4E
	v_add3_u32 v248, v78, v251, 1                              // 000000007F6C: D1FF00F8 0207F74E
	v_cndmask_b32_e64 v28, v248, v250, s[78:79]                // 000000007F74: D100001C 013BF5F8
	v_cmp_u_f32_e64 s[78:79], v79, v79                         // 000000007F7C: D048004E 00029F4F
	v_add3_u32 v248, v79, v251, 1                              // 000000007F84: D1FF00F8 0207F74F
	v_cndmask_b32_e64 v29, v248, v250, s[78:79]                // 000000007F8C: D100001D 013BF5F8
	v_perm_b32 v75, v29, v28, s64                              // 000000007F94: D1ED004B 0102391D
	v_cmp_u_f32_e64 s[78:79], v80, v80                         // 000000007F9C: D048004E 0002A150
	v_add3_u32 v248, v80, v251, 1                              // 000000007FA4: D1FF00F8 0207F750
	v_cndmask_b32_e64 v28, v248, v250, s[78:79]                // 000000007FAC: D100001C 013BF5F8
	v_cmp_u_f32_e64 s[78:79], v81, v81                         // 000000007FB4: D048004E 0002A351
	v_add3_u32 v248, v81, v251, 1                              // 000000007FBC: D1FF00F8 0207F751
	v_cndmask_b32_e64 v29, v248, v250, s[78:79]                // 000000007FC4: D100001D 013BF5F8
	v_perm_b32 v76, v29, v28, s64                              // 000000007FCC: D1ED004C 0102391D
	v_cmp_u_f32_e64 s[78:79], v82, v82                         // 000000007FD4: D048004E 0002A552
	v_add3_u32 v248, v82, v251, 1                              // 000000007FDC: D1FF00F8 0207F752
	v_cndmask_b32_e64 v28, v248, v250, s[78:79]                // 000000007FE4: D100001C 013BF5F8
	v_cmp_u_f32_e64 s[78:79], v83, v83                         // 000000007FEC: D048004E 0002A753
	v_add3_u32 v248, v83, v251, 1                              // 000000007FF4: D1FF00F8 0207F753
	v_cndmask_b32_e64 v29, v248, v250, s[78:79]                // 000000007FFC: D100001D 013BF5F8
	v_perm_b32 v77, v29, v28, s64                              // 000000008004: D1ED004D 0102391D
	v_mfma_f32_16x16x16_bf16 v[212:215], v[122:123], v[146:147], v[212:215]// 00000000800C: D3E100D4 0753257A
	v_mov_b32_dpp v16, v75 quad_perm:[1,0,3,2] row_mask:0xf bank_mask:0xf// 000000008014: 7E2002FA FF00B14B
	v_perm_b32 v51, v16, v75, v15                              // 00000000801C: D1ED0033 043E9710
	v_mov_b32_dpp v16, v76 quad_perm:[1,0,3,2] row_mask:0xf bank_mask:0xf// 000000008024: 7E2002FA FF00B14C
	v_mfma_f32_16x16x16_bf16 v[216:219], v[108:109], v[148:149], v[216:219]// 00000000802C: D3E100D8 0763296C
	ds_write_b32 v18, v51 offset:20256                         // 000000008034: D81A4F20 00003312
	v_mfma_f32_16x16x16_bf16 v[220:223], v[110:111], v[148:149], v[220:223]// 00000000803C: D3E100DC 0773296E
	v_perm_b32 v52, v16, v76, v15                              // 000000008044: D1ED0034 043E9910
	v_mov_b32_dpp v16, v77 quad_perm:[1,0,3,2] row_mask:0xf bank_mask:0xf// 00000000804C: 7E2002FA FF00B14D
	v_perm_b32 v53, v16, v77, v15                              // 000000008054: D1ED0035 043E9B10
	v_mfma_f32_16x16x16_bf16 v[224:227], v[112:113], v[148:149], v[224:227]// 00000000805C: D3E100E0 07832970
	ds_write_b32 v18, v52 offset:22016                         // 000000008064: D81A5600 00003412
	ds_write_b32 v18, v53 offset:22560                         // 00000000806C: D81A5820 00003512
	v_mfma_f32_16x16x16_bf16 v[228:231], v[114:115], v[148:149], v[228:231]// 000000008074: D3E100E4 07932972
	v_mfma_f32_16x16x16_bf16 v[232:235], v[116:117], v[148:149], v[232:235]// 00000000807C: D3E100E8 07A32974
	ds_write_b32 v13, v84 offset:4352                          // 000000008084: D81A1100 0000540D
	ds_write_b32 v13, v85 offset:5408                          // 00000000808C: D81A1520 0000550D
	v_mfma_f32_16x16x16_bf16 v[236:239], v[118:119], v[148:149], v[236:239]// 000000008094: D3E100EC 07B32976
	v_mfma_f32_16x16x16_bf16 v[240:243], v[120:121], v[148:149], v[240:243]// 00000000809C: D3E100F0 07C32978
	ds_write_b32 v13, v86 offset:4480                          // 0000000080A4: D81A1180 0000560D
	ds_write_b32 v13, v87 offset:5536                          // 0000000080AC: D81A15A0 0000570D
	v_mfma_f32_16x16x16_bf16 v[244:247], v[122:123], v[148:149], v[244:247]// 0000000080B4: D3E100F4 07D3297A
	s_nop 0                                                    // 0000000080BC: BF800000
	s_nop 0                                                    // 0000000080C0: BF800000
	s_nop 0                                                    // 0000000080C4: BF800000
	s_barrier                                                  // 0000000080C8: BF8A0000
	v_mfma_f32_16x16x16_bf16 a[160:163], a[144:145], v[72:73], a[160:163]// 0000000080CC: D3E180A0 0E829190
	ds_read_b32 v124, v21 offset:51200                         // 0000000080D4: D86CC800 7C000015
	ds_read_b32 v150, v21 offset:51456                         // 0000000080DC: D86CC900 96000015
	v_mfma_f32_16x16x16_bf16 a[164:167], a[146:147], v[72:73], a[164:167]// 0000000080E4: D3E180A4 0E929192
	buffer_atomic_add_f32 v136, v7, s[32:35], 0 idxen          // 0000000080EC: E1342000 80088807
	v_mfma_f32_16x16x16_bf16 a[168:171], a[148:149], v[72:73], a[168:171]// 0000000080F4: D3E180A8 0EA29194
	s_waitcnt lgkmcnt(6)                                       // 0000000080FC: BF8CC67F
	s_barrier                                                  // 000000008100: BF8A0000
	v_mfma_f32_16x16x16_bf16 a[172:175], a[150:151], v[72:73], a[172:175]// 000000008104: D3E180AC 0EB29196
	v_mfma_f32_16x16x16_bf16 a[176:179], a[152:153], v[72:73], a[176:179]// 00000000810C: D3E180B0 0EC29198
	ds_read_b128 v[48:51], v17 offset:17408                    // 000000008114: D9FE4400 30000011
	v_mfma_f32_16x16x16_bf16 a[180:183], a[154:155], v[72:73], a[180:183]// 00000000811C: D3E180B4 0ED2919A
	v_mfma_f32_16x16x16_bf16 a[184:187], a[156:157], v[72:73], a[184:187]// 000000008124: D3E180B8 0EE2919C
	ds_read_b128 v[52:55], v17 offset:18560                    // 00000000812C: D9FE4880 34000011
	v_mfma_f32_16x16x16_bf16 a[188:191], a[158:159], v[72:73], a[188:191]// 000000008134: D3E180BC 0EF2919E
	buffer_atomic_add_f32 v137, v8, s[32:35], 0 idxen          // 00000000813C: E1342000 80088908
	v_mfma_f32_16x16x16_bf16 a[192:195], a[144:145], v[74:75], a[192:195]// 000000008144: D3E180C0 0F029590
	ds_read_b128 v[56:59], v17 offset:19712                    // 00000000814C: D9FE4D00 38000011
	v_mfma_f32_16x16x16_bf16 a[196:199], a[146:147], v[74:75], a[196:199]// 000000008154: D3E180C4 0F129592
	v_mfma_f32_16x16x16_bf16 a[200:203], a[148:149], v[74:75], a[200:203]// 00000000815C: D3E180C8 0F229594
	ds_read_b128 v[60:63], v17 offset:20864                    // 000000008164: D9FE5180 3C000011
	v_mfma_f32_16x16x16_bf16 a[204:207], a[150:151], v[74:75], a[204:207]// 00000000816C: D3E180CC 0F329596
	v_mfma_f32_16x16x16_bf16 a[208:211], a[152:153], v[74:75], a[208:211]// 000000008174: D3E180D0 0F429598
	ds_read_b128 v[64:67], v17 offset:22016                    // 00000000817C: D9FE5600 40000011
	v_mfma_f32_16x16x16_bf16 a[212:215], a[154:155], v[74:75], a[212:215]// 000000008184: D3E180D4 0F52959A
	buffer_atomic_add_f32 v138, v7, s[32:35], 0 idxen offset:128// 00000000818C: E1342080 80088A07
	v_mfma_f32_16x16x16_bf16 a[216:219], a[156:157], v[74:75], a[216:219]// 000000008194: D3E180D8 0F62959C
	ds_read_b128 v[68:71], v17 offset:23168                    // 00000000819C: D9FE5A80 44000011
	v_mfma_f32_16x16x16_bf16 a[220:223], a[158:159], v[74:75], a[220:223]// 0000000081A4: D3E180DC 0F72959E
	v_mfma_f32_16x16x16_bf16 a[224:227], a[144:145], v[76:77], a[224:227]// 0000000081AC: D3E180E0 0F829990
	ds_write_b32 v13, v88 offset:13056                         // 0000000081B4: D81A3300 0000580D
	v_mfma_f32_16x16x16_bf16 a[228:231], a[146:147], v[76:77], a[228:231]// 0000000081BC: D3E180E4 0F929992
	v_mfma_f32_16x16x16_bf16 a[232:235], a[148:149], v[76:77], a[232:235]// 0000000081C4: D3E180E8 0FA29994
	ds_write_b32 v13, v89 offset:14112                         // 0000000081CC: D81A3720 0000590D
	v_mfma_f32_16x16x16_bf16 a[236:239], a[150:151], v[76:77], a[236:239]// 0000000081D4: D3E180EC 0FB29996
	buffer_atomic_add_f32 v139, v8, s[32:35], 0 idxen offset:128// 0000000081DC: E1342080 80088B08
	v_mfma_f32_16x16x16_bf16 a[240:243], a[152:153], v[76:77], a[240:243]// 0000000081E4: D3E180F0 0FC29998
	ds_write_b32 v13, v90 offset:13184                         // 0000000081EC: D81A3380 00005A0D
	v_mfma_f32_16x16x16_bf16 a[244:247], a[154:155], v[76:77], a[244:247]// 0000000081F4: D3E180F4 0FD2999A
	v_mfma_f32_16x16x16_bf16 a[248:251], a[156:157], v[76:77], a[248:251]// 0000000081FC: D3E180F8 0FE2999C
	ds_write_b32 v13, v91 offset:14240                         // 000000008204: D81A37A0 00005B0D
	v_mfma_f32_16x16x16_bf16 a[252:255], a[158:159], v[76:77], a[252:255]// 00000000820C: D3E180FC 0FF2999E
	s_waitcnt vmcnt(8) lgkmcnt(4)                              // 000000008214: BF8C0478
	s_barrier                                                  // 000000008218: BF8A0000
	v_mfma_f32_16x16x16_bf16 v[128:131], v[48:49], a[48:49], 0 // 00000000821C: D3E10080 12026130
	ds_read_b128 a[144:147], v10                               // 000000008224: DBFE0000 9000000A
	buffer_load_dword v36, v1, s[8:11], 0 idxen                // 00000000822C: E0502000 80022401
	v_mfma_f32_16x16x16_bf16 v[128:131], v[50:51], a[52:53], v[128:131]// 000000008234: D3E10080 16026932
	v_mul_f32_e32 v124, s49, v124                              // 00000000823C: 0AF8F831
	s_nop 0                                                    // 000000008240: BF800000
	v_mfma_f32_16x16x16_bf16 v[128:131], v[52:53], a[56:57], v[128:131]// 000000008244: D3E10080 16027134
	ds_read_b128 a[148:151], v10 offset:512                    // 00000000824C: DBFE0200 9400000A
	buffer_load_dword v37, v2, s[8:11], 0 idxen                // 000000008254: E0502000 80022502
	v_mfma_f32_16x16x16_bf16 v[128:131], v[54:55], a[60:61], v[128:131]// 00000000825C: D3E10080 16027936
	v_mfma_f32_16x16x16_bf16 v[128:131], v[56:57], a[64:65], v[128:131]// 000000008264: D3E10080 16028138
	ds_read_b128 a[152:155], v10 offset:2176                   // 00000000826C: DBFE0880 9800000A
	buffer_load_dword v38, v3, s[8:11], 0 idxen                // 000000008274: E0502000 80022603
	v_mfma_f32_16x16x16_bf16 v[128:131], v[58:59], a[68:69], v[128:131]// 00000000827C: D3E10080 1602893A
	v_perm_b32 v84, v33, v32, s63                              // 000000008284: D1ED0054 00FE4121
	v_perm_b32 v85, v33, v32, s64                              // 00000000828C: D1ED0055 01024121
	v_mfma_f32_16x16x16_bf16 v[128:131], v[60:61], a[72:73], v[128:131]// 000000008294: D3E10080 1602913C
	ds_read_b128 a[156:159], v10 offset:2688                   // 00000000829C: DBFE0A80 9C00000A
	buffer_load_dword v39, v4, s[8:11], 0 idxen                // 0000000082A4: E0502000 80022704
	v_mfma_f32_16x16x16_bf16 v[128:131], v[62:63], a[76:77], v[128:131]// 0000000082AC: D3E10080 1602993E
	v_perm_b32 v86, v35, v34, s63                              // 0000000082B4: D1ED0056 00FE4523
	v_perm_b32 v87, v35, v34, s64                              // 0000000082BC: D1ED0057 01024523
	v_mfma_f32_16x16x16_bf16 v[128:131], v[64:65], a[80:81], v[128:131]// 0000000082C4: D3E10080 1602A140
	ds_read_b128 v[92:95], v10 offset:8704                     // 0000000082CC: D9FE2200 5C00000A
	buffer_load_dword v44, v1, s[20:23], 0 idxen               // 0000000082D4: E0502000 80052C01
	v_mfma_f32_16x16x16_bf16 v[128:131], v[66:67], a[84:85], v[128:131]// 0000000082DC: D3E10080 1602A942
	v_perm_b32 v88, v41, v40, s63                              // 0000000082E4: D1ED0058 00FE5129
	v_perm_b32 v89, v41, v40, s64                              // 0000000082EC: D1ED0059 01025129
	v_mfma_f32_16x16x16_bf16 v[128:131], v[68:69], a[88:89], v[128:131]// 0000000082F4: D3E10080 1602B144
	ds_read_b128 v[96:99], v10 offset:9216                     // 0000000082FC: D9FE2400 6000000A
	buffer_load_dword v45, v2, s[20:23], 0 idxen               // 000000008304: E0502000 80052D02
	v_mfma_f32_16x16x16_bf16 v[128:131], v[70:71], a[92:93], v[128:131]// 00000000830C: D3E10080 1602B946
	v_perm_b32 v90, v43, v42, s63                              // 000000008314: D1ED005A 00FE552B
	v_perm_b32 v91, v43, v42, s64                              // 00000000831C: D1ED005B 0102552B
	v_mfma_f32_16x16x16_bf16 v[132:135], v[48:49], a[50:51], 0 // 000000008324: D3E10084 12026530
	ds_read_b128 v[100:103], v10 offset:10880                  // 00000000832C: D9FE2A80 6400000A
	buffer_load_dword v46, v3, s[20:23], 0 idxen               // 000000008334: E0502000 80052E03
	v_mfma_f32_16x16x16_bf16 v[132:135], v[50:51], a[54:55], v[132:135]// 00000000833C: D3E10084 16126D32
	v_mov_b32_dpp v127, v124 quad_perm:[3,3,3,3] row_mask:0xf bank_mask:0xf// 000000008344: 7EFE02FA FF00FF7C
	v_mov_b32_dpp v126, v124 quad_perm:[2,2,2,2] row_mask:0xf bank_mask:0xf// 00000000834C: 7EFC02FA FF00AA7C
	v_mfma_f32_16x16x16_bf16 v[132:135], v[52:53], a[58:59], v[132:135]// 000000008354: D3E10084 16127534
	ds_read_b128 v[104:107], v10 offset:11392                  // 00000000835C: D9FE2C80 6800000A
	buffer_load_dword v47, v4, s[20:23], 0 idxen               // 000000008364: E0502000 80052F04
	v_mfma_f32_16x16x16_bf16 v[132:135], v[54:55], a[62:63], v[132:135]// 00000000836C: D3E10084 16127D36
	v_mov_b32_dpp v125, v124 quad_perm:[1,1,1,1] row_mask:0xf bank_mask:0xf// 000000008374: 7EFA02FA FF00557C
	v_mov_b32_dpp v124, v124 quad_perm:[0,0,0,0] row_mask:0xf bank_mask:0xf// 00000000837C: 7EF802FA FF00007C
	s_add_u32 s60, 64, s59                                     // 000000008384: 803C3BC0
	v_mfma_f32_16x16x16_bf16 v[132:135], v[56:57], a[66:67], v[132:135]// 000000008388: D3E10084 16128538
	buffer_load_dword v9, s[24:27], 0 idxen lds                // 000000008390: E0512000 80060009
	v_mfma_f32_16x16x16_bf16 v[132:135], v[58:59], a[70:71], v[132:135]// 000000008398: D3E10084 16128D3A
	s_cmp_lt_u32 s60, s58                                      // 0000000083A0: BF0A3A3C
	s_cselect_b32 s68, s68, 0                                  // 0000000083A4: 85448044
	s_cselect_b32 s69, s69, 0                                  // 0000000083A8: 85458045
	v_mfma_f32_16x16x16_bf16 v[132:135], v[60:61], a[74:75], v[132:135]// 0000000083AC: D3E10084 1612953C
	s_add_u32 s8, s68, s8                                      // 0000000083B4: 80080844
	s_addc_u32 s9, 0, s9                                       // 0000000083B8: 82090980
	v_mfma_f32_16x16x16_bf16 v[132:135], v[62:63], a[78:79], v[132:135]// 0000000083BC: D3E10084 16129D3E
	s_add_u32 s20, s68, s20                                    // 0000000083C4: 80141444
	s_addc_u32 s21, 0, s21                                     // 0000000083C8: 82151580
	v_mfma_f32_16x16x16_bf16 v[132:135], v[64:65], a[82:83], v[132:135]// 0000000083CC: D3E10084 1612A540
	s_mov_b32 m0, s80                                          // 0000000083D4: BEFC0050
	v_add_u32_e32 v9, s69, v9                                  // 0000000083D8: 68121245
	v_mfma_f32_16x16x16_bf16 v[132:135], v[66:67], a[86:87], v[132:135]// 0000000083DC: D3E10084 1612AD42
	s_cmp_ge_u32 s59, s73                                      // 0000000083E4: BF09493B
	s_cselect_b32 s66, s67, s66                                // 0000000083E8: 85424243
	v_mfma_f32_16x16x16_bf16 v[132:135], v[68:69], a[90:91], v[132:135]// 0000000083EC: D3E10084 1612B544
	s_addk_i32 s59, 0x10                                       // 0000000083F4: B73B0010
	s_nop 0                                                    // 0000000083F8: BF800000
	s_cmp_lt_i32 s59, s58                                      // 0000000083FC: BF043A3B
	v_mfma_f32_16x16x16_bf16 v[132:135], v[70:71], a[94:95], v[132:135]// 000000008400: D3E10084 1612BD46
	s_cbranch_scc0 label_0E40                                  // 000000008408: BF84FCBD
	s_waitcnt lgkmcnt(4)                                       // 00000000840C: BF8CC47F
	s_barrier                                                  // 000000008410: BF8A0000
	v_mfma_f32_16x16x16_bf16 v[48:51], a[144:145], a[0:1], 0   // 000000008414: D3E10030 1A020190
	v_mul_f32_e32 v128, s48, v128                              // 00000000841C: 0B010030
	v_mul_f32_e32 v129, s48, v129                              // 000000008420: 0B030230
	v_mfma_f32_16x16x16_bf16 v[48:51], a[146:147], a[2:3], v[48:51]// 000000008424: D3E10030 1CC20592
	ds_write_b32 v11, v40 offset:8704                          // 00000000842C: D81A2200 0000280B
	ds_write_b32 v11, v41 offset:9760                          // 000000008434: D81A2620 0000290B
	v_mfma_f32_16x16x16_bf16 v[48:51], a[148:149], a[4:5], v[48:51]// 00000000843C: D3E10030 1CC20994
	v_mul_f32_e32 v130, s48, v130                              // 000000008444: 0B050430
	v_mul_f32_e32 v131, s48, v131                              // 000000008448: 0B070630
	v_mfma_f32_16x16x16_bf16 v[48:51], a[150:151], a[6:7], v[48:51]// 00000000844C: D3E10030 1CC20D96
	ds_write_b32 v11, v42 offset:8832                          // 000000008454: D81A2280 00002A0B
	ds_write_b32 v11, v43 offset:9888                          // 00000000845C: D81A26A0 00002B0B
	v_mfma_f32_16x16x16_bf16 v[48:51], a[152:153], a[8:9], v[48:51]// 000000008464: D3E10030 1CC21198
	v_mul_f32_e32 v132, s48, v132                              // 00000000846C: 0B090830
	v_mul_f32_e32 v133, s48, v133                              // 000000008470: 0B0B0A30
	v_mfma_f32_16x16x16_bf16 v[48:51], a[154:155], a[10:11], v[48:51]// 000000008474: D3E10030 1CC2159A
	ds_write_b64 v20, v[128:129] offset:24320                  // 00000000847C: D89A5F00 00008014
	v_mfma_f32_16x16x16_bf16 v[48:51], a[156:157], a[12:13], v[48:51]// 000000008484: D3E10030 1CC2199C
	v_mul_f32_e32 v134, s48, v134                              // 00000000848C: 0B0D0C30
	v_mul_f32_e32 v135, s48, v135                              // 000000008490: 0B0F0E30
	v_mfma_f32_16x16x16_bf16 v[48:51], a[158:159], a[14:15], v[48:51]// 000000008494: D3E10030 1CC21D9E
	ds_write_b64 v20, v[130:131] offset:24832                  // 00000000849C: D89A6100 00008214
	v_mfma_f32_16x16x16_bf16 v[52:55], a[144:145], a[16:17], 0 // 0000000084A4: D3E10034 1A022190
	buffer_atomic_add_f32 v140, v7, s[32:35], 0 idxen offset:256// 0000000084AC: E1342100 80088C07
	v_mfma_f32_16x16x16_bf16 v[52:55], a[146:147], a[18:19], v[52:55]// 0000000084B4: D3E10034 1CD22592
	ds_write_b64 v20, v[132:133] offset:25344                  // 0000000084BC: D89A6300 00008414
	v_mfma_f32_16x16x16_bf16 v[52:55], a[148:149], a[20:21], v[52:55]// 0000000084C4: D3E10034 1CD22994
	v_mfma_f32_16x16x16_bf16 v[52:55], a[150:151], a[22:23], v[52:55]// 0000000084CC: D3E10034 1CD22D96
	ds_write_b64 v20, v[134:135] offset:25856                  // 0000000084D4: D89A6500 00008614
	v_mfma_f32_16x16x16_bf16 v[52:55], a[152:153], a[24:25], v[52:55]// 0000000084DC: D3E10034 1CD23198
	buffer_atomic_add_f32 v141, v8, s[32:35], 0 idxen offset:256// 0000000084E4: E1342100 80088D08
	v_mfma_f32_16x16x16_bf16 v[52:55], a[154:155], a[26:27], v[52:55]// 0000000084EC: D3E10034 1CD2359A
	ds_read_b128 v[108:111], v12 offset:13056                  // 0000000084F4: D9FE3300 6C00000C
	ds_write_b32 v11, v32                                      // 0000000084FC: D81A0000 0000200B
	v_mfma_f32_16x16x16_bf16 v[52:55], a[156:157], a[28:29], v[52:55]// 000000008504: D3E10034 1CD2399C
	v_mfma_f32_16x16x16_bf16 v[52:55], a[158:159], a[30:31], v[52:55]// 00000000850C: D3E10034 1CD23D9E
	v_mfma_f32_16x16x16_bf16 v[56:59], a[144:145], a[32:33], 0 // 000000008514: D3E10038 1A024190
	ds_read_b128 v[112:115], v12 offset:13568                  // 00000000851C: D9FE3500 7000000C
	ds_write_b32 v11, v33 offset:1056                          // 000000008524: D81A0420 0000210B
	v_mfma_f32_16x16x16_bf16 v[56:59], a[146:147], a[34:35], v[56:59]// 00000000852C: D3E10038 1CE24592
	buffer_atomic_add_f32 v142, v7, s[32:35], 0 idxen offset:384// 000000008534: E1342180 80088E07
	v_mfma_f32_16x16x16_bf16 v[56:59], a[148:149], a[36:37], v[56:59]// 00000000853C: D3E10038 1CE24994
	v_mfma_f32_16x16x16_bf16 v[56:59], a[150:151], a[38:39], v[56:59]// 000000008544: D3E10038 1CE24D96
	ds_read_b128 v[116:119], v12 offset:15232                  // 00000000854C: D9FE3B80 7400000C
	ds_write_b32 v11, v34 offset:128                           // 000000008554: D81A0080 0000220B
	v_mfma_f32_16x16x16_bf16 v[56:59], a[152:153], a[40:41], v[56:59]// 00000000855C: D3E10038 1CE25198
	v_mfma_f32_16x16x16_bf16 v[56:59], a[154:155], a[42:43], v[56:59]// 000000008564: D3E10038 1CE2559A
	buffer_atomic_add_f32 v143, v8, s[32:35], 0 idxen offset:384// 00000000856C: E1342180 80088F08
	v_mfma_f32_16x16x16_bf16 v[56:59], a[156:157], a[44:45], v[56:59]// 000000008574: D3E10038 1CE2599C
	ds_read_b128 v[120:123], v12 offset:15744                  // 00000000857C: D9FE3D80 7800000C
	ds_write_b32 v11, v35 offset:1184                          // 000000008584: D81A04A0 0000230B
	v_mfma_f32_16x16x16_bf16 v[56:59], a[158:159], a[46:47], v[56:59]// 00000000858C: D3E10038 1CE25D9E
	s_cmp_lt_i32 s74, 12                                       // 000000008594: BF048C4A
	s_cbranch_scc0 label_125C                                  // 000000008598: BF840075
	s_mov_b32 s60, 0xffe0fffe                                  // 00000000859C: BEBC00FF FFE0FFFE
	s_mov_b32 s61, 0xe000fe00                                  // 0000000085A4: BEBD00FF E000FE00
	s_nop 0                                                    // 0000000085AC: BF800000
	s_add_u32 s62, 0, s47                                      // 0000000085B0: 803E2F80
	s_cmp_lt_i32 s74, s62                                      // 0000000085B4: BF043E4A
	s_cbranch_scc1 label_1217                                  // 0000000085B8: BF850028
	s_cmp_eq_i32 s74, s62                                      // 0000000085BC: BF003E4A
	s_cbranch_scc1 label_11FC                                  // 0000000085C0: BF85000B
	s_add_u32 s62, 4, s47                                      // 0000000085C4: 803E2F84
	s_cmp_lt_i32 s74, s62                                      // 0000000085C8: BF043E4A
	s_cbranch_scc1 label_1237                                  // 0000000085CC: BF850043
	s_cmp_eq_i32 s74, s62                                      // 0000000085D0: BF003E4A
	s_cbranch_scc1 label_121C                                  // 0000000085D4: BF850026
	s_add_u32 s62, 8, s47                                      // 0000000085D8: 803E2F88
	s_cmp_lt_i32 s74, s62                                      // 0000000085DC: BF043E4A
	s_cbranch_scc1 label_1257                                  // 0000000085E0: BF85005E
	s_cmp_eq_i32 s74, s62                                      // 0000000085E4: BF003E4A
	s_cbranch_scc1 label_123C                                  // 0000000085E8: BF850041
	s_branch label_125C                                        // 0000000085EC: BF820060

00000000000085f0 <label_11FC>:
	v_cndmask_b32_e64 v48, v48, v151, s[60:61]                 // 0000000085F0: D1000030 00F32F30
	s_lshl_b32 s60, s60, 1                                     // 0000000085F8: 8E3C813C
	s_lshl_b32 s61, s61, 1                                     // 0000000085FC: 8E3D813D
	s_and_b32 s60, 0xfffeffff, s60                             // 000000008600: 863C3CFF FFFEFFFF
	s_and_b32 s61, 0xfffeffff, s61                             // 000000008608: 863D3DFF FFFEFFFF
	v_cndmask_b32_e64 v49, v49, v151, s[60:61]                 // 000000008610: D1000031 00F32F31
	s_lshl_b32 s60, s60, 1                                     // 000000008618: 8E3C813C
	s_lshl_b32 s61, s61, 1                                     // 00000000861C: 8E3D813D
	s_and_b32 s60, 0xfffeffff, s60                             // 000000008620: 863C3CFF FFFEFFFF
	s_and_b32 s61, 0xfffeffff, s61                             // 000000008628: 863D3DFF FFFEFFFF
	v_cndmask_b32_e64 v50, v50, v151, s[60:61]                 // 000000008630: D1000032 00F32F32
	s_lshl_b32 s60, s60, 1                                     // 000000008638: 8E3C813C
	s_lshl_b32 s61, s61, 1                                     // 00000000863C: 8E3D813D
	s_and_b32 s60, 0xfffeffff, s60                             // 000000008640: 863C3CFF FFFEFFFF
	s_and_b32 s61, 0xfffeffff, s61                             // 000000008648: 863D3DFF FFFEFFFF
	v_cndmask_b32_e64 v51, v51, v151, s[60:61]                 // 000000008650: D1000033 00F32F33
	s_branch label_1237                                        // 000000008658: BF820020

000000000000865c <label_1217>:
	v_mov_b32_e32 v48, v151                                    // 00000000865C: 7E600397
	v_mov_b32_e32 v49, v151                                    // 000000008660: 7E620397
	v_mov_b32_e32 v50, v151                                    // 000000008664: 7E640397
	v_mov_b32_e32 v51, v151                                    // 000000008668: 7E660397
	s_branch label_1237                                        // 00000000866C: BF82001B

0000000000008670 <label_121C>:
	v_cndmask_b32_e64 v52, v52, v151, s[60:61]                 // 000000008670: D1000034 00F32F34
	s_lshl_b32 s60, s60, 1                                     // 000000008678: 8E3C813C
	s_lshl_b32 s61, s61, 1                                     // 00000000867C: 8E3D813D
	s_and_b32 s60, 0xfffeffff, s60                             // 000000008680: 863C3CFF FFFEFFFF
	s_and_b32 s61, 0xfffeffff, s61                             // 000000008688: 863D3DFF FFFEFFFF
	v_cndmask_b32_e64 v53, v53, v151, s[60:61]                 // 000000008690: D1000035 00F32F35
	s_lshl_b32 s60, s60, 1                                     // 000000008698: 8E3C813C
	s_lshl_b32 s61, s61, 1                                     // 00000000869C: 8E3D813D
	s_and_b32 s60, 0xfffeffff, s60                             // 0000000086A0: 863C3CFF FFFEFFFF
	s_and_b32 s61, 0xfffeffff, s61                             // 0000000086A8: 863D3DFF FFFEFFFF
	v_cndmask_b32_e64 v54, v54, v151, s[60:61]                 // 0000000086B0: D1000036 00F32F36
	s_lshl_b32 s60, s60, 1                                     // 0000000086B8: 8E3C813C
	s_lshl_b32 s61, s61, 1                                     // 0000000086BC: 8E3D813D
	s_and_b32 s60, 0xfffeffff, s60                             // 0000000086C0: 863C3CFF FFFEFFFF
	s_and_b32 s61, 0xfffeffff, s61                             // 0000000086C8: 863D3DFF FFFEFFFF
	v_cndmask_b32_e64 v55, v55, v151, s[60:61]                 // 0000000086D0: D1000037 00F32F37
	s_branch label_1257                                        // 0000000086D8: BF820020

00000000000086dc <label_1237>:
	v_mov_b32_e32 v52, v151                                    // 0000000086DC: 7E680397
	v_mov_b32_e32 v53, v151                                    // 0000000086E0: 7E6A0397
	v_mov_b32_e32 v54, v151                                    // 0000000086E4: 7E6C0397
	v_mov_b32_e32 v55, v151                                    // 0000000086E8: 7E6E0397
	s_branch label_1257                                        // 0000000086EC: BF82001B

00000000000086f0 <label_123C>:
	v_cndmask_b32_e64 v56, v56, v151, s[60:61]                 // 0000000086F0: D1000038 00F32F38
	s_lshl_b32 s60, s60, 1                                     // 0000000086F8: 8E3C813C
	s_lshl_b32 s61, s61, 1                                     // 0000000086FC: 8E3D813D
	s_and_b32 s60, 0xfffeffff, s60                             // 000000008700: 863C3CFF FFFEFFFF
	s_and_b32 s61, 0xfffeffff, s61                             // 000000008708: 863D3DFF FFFEFFFF
	v_cndmask_b32_e64 v57, v57, v151, s[60:61]                 // 000000008710: D1000039 00F32F39
	s_lshl_b32 s60, s60, 1                                     // 000000008718: 8E3C813C
	s_lshl_b32 s61, s61, 1                                     // 00000000871C: 8E3D813D
	s_and_b32 s60, 0xfffeffff, s60                             // 000000008720: 863C3CFF FFFEFFFF
	s_and_b32 s61, 0xfffeffff, s61                             // 000000008728: 863D3DFF FFFEFFFF
	v_cndmask_b32_e64 v58, v58, v151, s[60:61]                 // 000000008730: D100003A 00F32F3A
	s_lshl_b32 s60, s60, 1                                     // 000000008738: 8E3C813C
	s_lshl_b32 s61, s61, 1                                     // 00000000873C: 8E3D813D
	s_and_b32 s60, 0xfffeffff, s60                             // 000000008740: 863C3CFF FFFEFFFF
	s_and_b32 s61, 0xfffeffff, s61                             // 000000008748: 863D3DFF FFFEFFFF
	v_cndmask_b32_e64 v59, v59, v151, s[60:61]                 // 000000008750: D100003B 00F32F3B
	s_branch label_125C                                        // 000000008758: BF820005

000000000000875c <label_1257>:
	v_mov_b32_e32 v56, v151                                    // 00000000875C: 7E700397
	v_mov_b32_e32 v57, v151                                    // 000000008760: 7E720397
	v_mov_b32_e32 v58, v151                                    // 000000008764: 7E740397
	v_mov_b32_e32 v59, v151                                    // 000000008768: 7E760397
	s_branch label_125C                                        // 00000000876C: BF820000

0000000000008770 <label_125C>:
	s_addk_i32 s74, 0x1                                        // 000000008770: B74A0001
	s_waitcnt lgkmcnt(8)                                       // 000000008774: BF8CC87F
	s_barrier                                                  // 000000008778: BF8A0000
	v_mfma_f32_16x16x16_bf16 v[72:75], v[92:93], a[96:97], 0   // 00000000877C: D3E10048 1202C15C
	v_fma_f32 v48, v48, s57, -v124                             // 000000008784: D1CB0030 85F07330
	v_fma_f32 v49, v49, s57, -v125                             // 00000000878C: D1CB0031 85F47331
	v_fma_f32 v50, v50, s57, -v126                             // 000000008794: D1CB0032 85F87332
	v_mfma_f32_16x16x16_bf16 v[72:75], v[94:95], a[98:99], v[72:75]// 00000000879C: D3E10048 1522C55E
	ds_read_b128 a[144:147], v12 offset:4352                   // 0000000087A4: DBFE1100 9000000C
	ds_read_b128 a[148:151], v12 offset:4864                   // 0000000087AC: DBFE1300 9400000C
	v_mfma_f32_16x16x16_bf16 v[72:75], v[96:97], a[100:101], v[72:75]// 0000000087B4: D3E10048 1522C960
	v_fma_f32 v51, v51, s57, -v127                             // 0000000087BC: D1CB0033 85FC7333
	v_fma_f32 v52, v52, s57, -v124                             // 0000000087C4: D1CB0034 85F07334
	v_fma_f32 v53, v53, s57, -v125                             // 0000000087CC: D1CB0035 85F47335
	v_mfma_f32_16x16x16_bf16 v[72:75], v[98:99], a[102:103], v[72:75]// 0000000087D4: D3E10048 1522CD62
	v_fma_f32 v54, v54, s57, -v126                             // 0000000087DC: D1CB0036 85F87336
	v_fma_f32 v55, v55, s57, -v127                             // 0000000087E4: D1CB0037 85FC7337
	v_fma_f32 v56, v56, s57, -v124                             // 0000000087EC: D1CB0038 85F07338
	v_mfma_f32_16x16x16_bf16 v[72:75], v[100:101], a[104:105], v[72:75]// 0000000087F4: D3E10048 1522D164
	v_fma_f32 v57, v57, s57, -v125                             // 0000000087FC: D1CB0039 85F47339
	v_fma_f32 v58, v58, s57, -v126                             // 000000008804: D1CB003A 85F8733A
	v_fma_f32 v59, v59, s57, -v127                             // 00000000880C: D1CB003B 85FC733B
	v_mfma_f32_16x16x16_bf16 v[72:75], v[102:103], a[106:107], v[72:75]// 000000008814: D3E10048 1522D566
	ds_read_b128 a[152:155], v12 offset:6528                   // 00000000881C: DBFE1980 9800000C
	ds_read_b128 a[156:159], v12 offset:7040                   // 000000008824: DBFE1B80 9C00000C
	v_mfma_f32_16x16x16_bf16 v[72:75], v[104:105], a[108:109], v[72:75]// 00000000882C: D3E10048 1522D968
	v_exp_f32_e32 v48, v48                                     // 000000008834: 7E604130
	v_mfma_f32_16x16x16_bf16 v[72:75], v[106:107], a[110:111], v[72:75]// 000000008838: D3E10048 1522DD6A
	v_exp_f32_e32 v49, v49                                     // 000000008840: 7E624131
	v_mfma_f32_16x16x16_bf16 v[76:79], v[92:93], a[112:113], 0 // 000000008844: D3E1004C 1202E15C
	v_exp_f32_e32 v50, v50                                     // 00000000884C: 7E644132
	v_mfma_f32_16x16x16_bf16 v[76:79], v[94:95], a[114:115], v[76:79]// 000000008850: D3E1004C 1532E55E
	ds_read_b64 v[136:137], v19 offset:24320                   // 000000008858: D8EC5F00 88000013
	ds_read_b64 v[138:139], v19 offset:26368                   // 000000008860: D8EC6700 8A000013
	v_mfma_f32_16x16x16_bf16 v[76:79], v[96:97], a[116:117], v[76:79]// 000000008868: D3E1004C 1532E960
	v_exp_f32_e32 v51, v51                                     // 000000008870: 7E664133
	v_mfma_f32_16x16x16_bf16 v[76:79], v[98:99], a[118:119], v[76:79]// 000000008874: D3E1004C 1532ED62
	ds_read_b64 v[140:141], v19 offset:28416                   // 00000000887C: D8EC6F00 8C000013
	ds_read_b64 v[142:143], v19 offset:30464                   // 000000008884: D8EC7700 8E000013
	v_mfma_f32_16x16x16_bf16 v[76:79], v[100:101], a[120:121], v[76:79]// 00000000888C: D3E1004C 1532F164
	v_exp_f32_e32 v52, v52                                     // 000000008894: 7E684134
	v_mfma_f32_16x16x16_bf16 v[76:79], v[102:103], a[122:123], v[76:79]// 000000008898: D3E1004C 1532F566
	v_exp_f32_e32 v53, v53                                     // 0000000088A0: 7E6A4135
	v_mfma_f32_16x16x16_bf16 v[76:79], v[104:105], a[124:125], v[76:79]// 0000000088A4: D3E1004C 1532F968
	v_exp_f32_e32 v54, v54                                     // 0000000088AC: 7E6C4136
	v_mfma_f32_16x16x16_bf16 v[76:79], v[106:107], a[126:127], v[76:79]// 0000000088B0: D3E1004C 1532FD6A
	v_exp_f32_e32 v55, v55                                     // 0000000088B8: 7E6E4137
	v_mfma_f32_16x16x16_bf16 v[80:83], v[92:93], a[128:129], 0 // 0000000088BC: D3E10050 1203015C
	v_exp_f32_e32 v56, v56                                     // 0000000088C4: 7E704138
	v_mfma_f32_16x16x16_bf16 v[80:83], v[94:95], a[130:131], v[80:83]// 0000000088C8: D3E10050 1543055E
	v_exp_f32_e32 v57, v57                                     // 0000000088D0: 7E724139
	v_mfma_f32_16x16x16_bf16 v[80:83], v[96:97], a[132:133], v[80:83]// 0000000088D4: D3E10050 15430960
	v_exp_f32_e32 v58, v58                                     // 0000000088DC: 7E74413A
	v_mfma_f32_16x16x16_bf16 v[80:83], v[98:99], a[134:135], v[80:83]// 0000000088E0: D3E10050 15430D62
	v_exp_f32_e32 v59, v59                                     // 0000000088E8: 7E76413B
	v_mfma_f32_16x16x16_bf16 v[80:83], v[100:101], a[136:137], v[80:83]// 0000000088EC: D3E10050 15431164
	v_cmp_u_f32_e64 s[78:79], v48, v48                         // 0000000088F4: D048004E 00026130
	v_add3_u32 v248, v48, v251, 1                              // 0000000088FC: D1FF00F8 0207F730
	v_cndmask_b32_e64 v28, v248, v250, s[78:79]                // 000000008904: D100001C 013BF5F8
	v_cmp_u_f32_e64 s[78:79], v49, v49                         // 00000000890C: D048004E 00026331
	v_add3_u32 v248, v49, v251, 1                              // 000000008914: D1FF00F8 0207F731
	v_cndmask_b32_e64 v29, v248, v250, s[78:79]                // 00000000891C: D100001D 013BF5F8
	v_perm_b32 v144, v29, v28, s64                             // 000000008924: D1ED0090 0102391D
	v_cmp_u_f32_e64 s[78:79], v50, v50                         // 00000000892C: D048004E 00026532
	v_add3_u32 v248, v50, v251, 1                              // 000000008934: D1FF00F8 0207F732
	v_cndmask_b32_e64 v28, v248, v250, s[78:79]                // 00000000893C: D100001C 013BF5F8
	v_cmp_u_f32_e64 s[78:79], v51, v51                         // 000000008944: D048004E 00026733
	v_add3_u32 v248, v51, v251, 1                              // 00000000894C: D1FF00F8 0207F733
	v_cndmask_b32_e64 v29, v248, v250, s[78:79]                // 000000008954: D100001D 013BF5F8
	v_perm_b32 v145, v29, v28, s64                             // 00000000895C: D1ED0091 0102391D
	v_cmp_u_f32_e64 s[78:79], v52, v52                         // 000000008964: D048004E 00026934
	v_add3_u32 v248, v52, v251, 1                              // 00000000896C: D1FF00F8 0207F734
	v_cndmask_b32_e64 v28, v248, v250, s[78:79]                // 000000008974: D100001C 013BF5F8
	v_cmp_u_f32_e64 s[78:79], v53, v53                         // 00000000897C: D048004E 00026B35
	v_add3_u32 v248, v53, v251, 1                              // 000000008984: D1FF00F8 0207F735
	v_cndmask_b32_e64 v29, v248, v250, s[78:79]                // 00000000898C: D100001D 013BF5F8
	v_perm_b32 v146, v29, v28, s64                             // 000000008994: D1ED0092 0102391D
	v_mfma_f32_16x16x16_bf16 v[80:83], v[102:103], a[138:139], v[80:83]// 00000000899C: D3E10050 15431566
	v_cmp_u_f32_e64 s[78:79], v54, v54                         // 0000000089A4: D048004E 00026D36
	v_add3_u32 v248, v54, v251, 1                              // 0000000089AC: D1FF00F8 0207F736
	v_cndmask_b32_e64 v28, v248, v250, s[78:79]                // 0000000089B4: D100001C 013BF5F8
	v_cmp_u_f32_e64 s[78:79], v55, v55                         // 0000000089BC: D048004E 00026F37
	v_add3_u32 v248, v55, v251, 1                              // 0000000089C4: D1FF00F8 0207F737
	v_cndmask_b32_e64 v29, v248, v250, s[78:79]                // 0000000089CC: D100001D 013BF5F8
	v_perm_b32 v147, v29, v28, s64                             // 0000000089D4: D1ED0093 0102391D
	v_cmp_u_f32_e64 s[78:79], v56, v56                         // 0000000089DC: D048004E 00027138
	v_add3_u32 v248, v56, v251, 1                              // 0000000089E4: D1FF00F8 0207F738
	v_cndmask_b32_e64 v28, v248, v250, s[78:79]                // 0000000089EC: D100001C 013BF5F8
	v_cmp_u_f32_e64 s[78:79], v57, v57                         // 0000000089F4: D048004E 00027339
	v_add3_u32 v248, v57, v251, 1                              // 0000000089FC: D1FF00F8 0207F739
	v_cndmask_b32_e64 v29, v248, v250, s[78:79]                // 000000008A04: D100001D 013BF5F8
	v_perm_b32 v148, v29, v28, s64                             // 000000008A0C: D1ED0094 0102391D
	v_cmp_u_f32_e64 s[78:79], v58, v58                         // 000000008A14: D048004E 0002753A
	v_add3_u32 v248, v58, v251, 1                              // 000000008A1C: D1FF00F8 0207F73A
	v_cndmask_b32_e64 v28, v248, v250, s[78:79]                // 000000008A24: D100001C 013BF5F8
	v_cmp_u_f32_e64 s[78:79], v59, v59                         // 000000008A2C: D048004E 0002773B
	v_add3_u32 v248, v59, v251, 1                              // 000000008A34: D1FF00F8 0207F73B
	v_cndmask_b32_e64 v29, v248, v250, s[78:79]                // 000000008A3C: D100001D 013BF5F8
	v_perm_b32 v149, v29, v28, s64                             // 000000008A44: D1ED0095 0102391D
	v_mfma_f32_16x16x16_bf16 v[80:83], v[104:105], a[140:141], v[80:83]// 000000008A4C: D3E10050 15431968
	s_add_u32 s32, s66, s32                                    // 000000008A54: 80202042
	s_addc_u32 s33, 0, s33                                     // 000000008A58: 82212180
	v_mfma_f32_16x16x16_bf16 v[80:83], v[106:107], a[142:143], v[80:83]// 000000008A5C: D3E10050 15431D6A
	s_waitcnt lgkmcnt(0)                                       // 000000008A64: BF8CC07F
	s_barrier                                                  // 000000008A68: BF8A0000
	v_mfma_f32_16x16x16_bf16 v[152:155], v[108:109], v[144:145], v[152:155]// 000000008A6C: D3E10098 0663216C
	v_subrev_f32_dpp v72, v150, v72 quad_perm:[0,0,0,0] row_mask:0xf bank_mask:0xf// 000000008A74: 069090FA FF000096
	v_subrev_f32_dpp v73, v150, v73 quad_perm:[1,1,1,1] row_mask:0xf bank_mask:0xf// 000000008A7C: 069292FA FF005596
	v_subrev_f32_dpp v74, v150, v74 quad_perm:[2,2,2,2] row_mask:0xf bank_mask:0xf// 000000008A84: 069494FA FF00AA96
	v_mfma_f32_16x16x16_bf16 v[156:159], v[110:111], v[144:145], v[156:159]// 000000008A8C: D3E1009C 0673216E
	v_subrev_f32_dpp v75, v150, v75 quad_perm:[3,3,3,3] row_mask:0xf bank_mask:0xf// 000000008A94: 069696FA FF00FF96
	v_subrev_f32_dpp v76, v150, v76 quad_perm:[0,0,0,0] row_mask:0xf bank_mask:0xf// 000000008A9C: 069898FA FF000096
	v_subrev_f32_dpp v77, v150, v77 quad_perm:[1,1,1,1] row_mask:0xf bank_mask:0xf// 000000008AA4: 069A9AFA FF005596
	v_mfma_f32_16x16x16_bf16 v[160:163], v[112:113], v[144:145], v[160:163]// 000000008AAC: D3E100A0 06832170
	v_mul_f32_e32 v72, v48, v72                                // 000000008AB4: 0A909130
	v_mul_f32_e32 v73, v49, v73                                // 000000008AB8: 0A929331
	v_mul_f32_e32 v74, v50, v74                                // 000000008ABC: 0A949532
	v_mfma_f32_16x16x16_bf16 v[164:167], v[114:115], v[144:145], v[164:167]// 000000008AC0: D3E100A4 06932172
	v_mul_f32_e32 v75, v51, v75                                // 000000008AC8: 0A969733
	v_mul_f32_e32 v76, v52, v76                                // 000000008ACC: 0A989934
	v_mul_f32_e32 v77, v53, v77                                // 000000008AD0: 0A9A9B35
	v_mfma_f32_16x16x16_bf16 v[168:171], v[116:117], v[144:145], v[168:171]// 000000008AD4: D3E100A8 06A32174
	v_cmp_u_f32_e64 s[78:79], v72, v72                         // 000000008ADC: D048004E 00029148
	v_add3_u32 v248, v72, v251, 1                              // 000000008AE4: D1FF00F8 0207F748
	v_cndmask_b32_e64 v28, v248, v250, s[78:79]                // 000000008AEC: D100001C 013BF5F8
	v_cmp_u_f32_e64 s[78:79], v73, v73                         // 000000008AF4: D048004E 00029349
	v_add3_u32 v248, v73, v251, 1                              // 000000008AFC: D1FF00F8 0207F749
	v_cndmask_b32_e64 v29, v248, v250, s[78:79]                // 000000008B04: D100001D 013BF5F8
	v_perm_b32 v72, v29, v28, s64                              // 000000008B0C: D1ED0048 0102391D
	v_cmp_u_f32_e64 s[78:79], v74, v74                         // 000000008B14: D048004E 0002954A
	v_add3_u32 v248, v74, v251, 1                              // 000000008B1C: D1FF00F8 0207F74A
	v_cndmask_b32_e64 v28, v248, v250, s[78:79]                // 000000008B24: D100001C 013BF5F8
	v_cmp_u_f32_e64 s[78:79], v75, v75                         // 000000008B2C: D048004E 0002974B
	v_add3_u32 v248, v75, v251, 1                              // 000000008B34: D1FF00F8 0207F74B
	v_cndmask_b32_e64 v29, v248, v250, s[78:79]                // 000000008B3C: D100001D 013BF5F8
	v_perm_b32 v73, v29, v28, s64                              // 000000008B44: D1ED0049 0102391D
	v_cmp_u_f32_e64 s[78:79], v76, v76                         // 000000008B4C: D048004E 0002994C
	v_add3_u32 v248, v76, v251, 1                              // 000000008B54: D1FF00F8 0207F74C
	v_cndmask_b32_e64 v28, v248, v250, s[78:79]                // 000000008B5C: D100001C 013BF5F8
	v_cmp_u_f32_e64 s[78:79], v77, v77                         // 000000008B64: D048004E 00029B4D
	v_add3_u32 v248, v77, v251, 1                              // 000000008B6C: D1FF00F8 0207F74D
	v_cndmask_b32_e64 v29, v248, v250, s[78:79]                // 000000008B74: D100001D 013BF5F8
	v_perm_b32 v74, v29, v28, s64                              // 000000008B7C: D1ED004A 0102391D
	v_mfma_f32_16x16x16_bf16 v[172:175], v[118:119], v[144:145], v[172:175]// 000000008B84: D3E100AC 06B32176
	v_mov_b32_dpp v16, v72 quad_perm:[1,0,3,2] row_mask:0xf bank_mask:0xf// 000000008B8C: 7E2002FA FF00B148
	v_perm_b32 v48, v16, v72, v15                              // 000000008B94: D1ED0030 043E9110
	v_mov_b32_dpp v16, v73 quad_perm:[1,0,3,2] row_mask:0xf bank_mask:0xf// 000000008B9C: 7E2002FA FF00B149
	v_mfma_f32_16x16x16_bf16 v[176:179], v[120:121], v[144:145], v[176:179]// 000000008BA4: D3E100B0 06C32178
	ds_write_b32 v18, v48 offset:17408                         // 000000008BAC: D81A4400 00003012
	v_mfma_f32_16x16x16_bf16 v[180:183], v[122:123], v[144:145], v[180:183]// 000000008BB4: D3E100B4 06D3217A
	v_perm_b32 v49, v16, v73, v15                              // 000000008BBC: D1ED0031 043E9310
	v_mov_b32_dpp v16, v74 quad_perm:[1,0,3,2] row_mask:0xf bank_mask:0xf// 000000008BC4: 7E2002FA FF00B14A
	v_perm_b32 v50, v16, v74, v15                              // 000000008BCC: D1ED0032 043E9510
	v_mfma_f32_16x16x16_bf16 v[184:187], v[108:109], v[146:147], v[184:187]// 000000008BD4: D3E100B8 06E3256C
	ds_write_b32 v18, v49 offset:17952                         // 000000008BDC: D81A4620 00003112
	v_mfma_f32_16x16x16_bf16 v[188:191], v[110:111], v[146:147], v[188:191]// 000000008BE4: D3E100BC 06F3256E
	v_subrev_f32_dpp v78, v150, v78 quad_perm:[2,2,2,2] row_mask:0xf bank_mask:0xf// 000000008BEC: 069C9CFA FF00AA96
	v_subrev_f32_dpp v79, v150, v79 quad_perm:[3,3,3,3] row_mask:0xf bank_mask:0xf// 000000008BF4: 069E9EFA FF00FF96
	v_subrev_f32_dpp v80, v150, v80 quad_perm:[0,0,0,0] row_mask:0xf bank_mask:0xf// 000000008BFC: 06A0A0FA FF000096
	v_mfma_f32_16x16x16_bf16 v[192:195], v[112:113], v[146:147], v[192:195]// 000000008C04: D3E100C0 07032570
	ds_write_b32 v18, v50 offset:19712                         // 000000008C0C: D81A4D00 00003212
	v_mfma_f32_16x16x16_bf16 v[196:199], v[114:115], v[146:147], v[196:199]// 000000008C14: D3E100C4 07132572
	v_subrev_f32_dpp v81, v150, v81 quad_perm:[1,1,1,1] row_mask:0xf bank_mask:0xf// 000000008C1C: 06A2A2FA FF005596
	v_subrev_f32_dpp v82, v150, v82 quad_perm:[2,2,2,2] row_mask:0xf bank_mask:0xf// 000000008C24: 06A4A4FA FF00AA96
	v_subrev_f32_dpp v83, v150, v83 quad_perm:[3,3,3,3] row_mask:0xf bank_mask:0xf// 000000008C2C: 06A6A6FA FF00FF96
	v_mfma_f32_16x16x16_bf16 v[200:203], v[116:117], v[146:147], v[200:203]// 000000008C34: D3E100C8 07232574
	v_mul_f32_e32 v78, v54, v78                                // 000000008C3C: 0A9C9D36
	v_mul_f32_e32 v79, v55, v79                                // 000000008C40: 0A9E9F37
	v_mul_f32_e32 v80, v56, v80                                // 000000008C44: 0AA0A138
	v_mfma_f32_16x16x16_bf16 v[204:207], v[118:119], v[146:147], v[204:207]// 000000008C48: D3E100CC 07332576
	v_mul_f32_e32 v81, v57, v81                                // 000000008C50: 0AA2A339
	v_mul_f32_e32 v82, v58, v82                                // 000000008C54: 0AA4A53A
	v_mul_f32_e32 v83, v59, v83                                // 000000008C58: 0AA6A73B
	v_mfma_f32_16x16x16_bf16 v[208:211], v[120:121], v[146:147], v[208:211]// 000000008C5C: D3E100D0 07432578
	v_cmp_u_f32_e64 s[78:79], v78, v78                         // 000000008C64: D048004E 00029D4E
	v_add3_u32 v248, v78, v251, 1                              // 000000008C6C: D1FF00F8 0207F74E
	v_cndmask_b32_e64 v28, v248, v250, s[78:79]                // 000000008C74: D100001C 013BF5F8
	v_cmp_u_f32_e64 s[78:79], v79, v79                         // 000000008C7C: D048004E 00029F4F
	v_add3_u32 v248, v79, v251, 1                              // 000000008C84: D1FF00F8 0207F74F
	v_cndmask_b32_e64 v29, v248, v250, s[78:79]                // 000000008C8C: D100001D 013BF5F8
	v_perm_b32 v75, v29, v28, s64                              // 000000008C94: D1ED004B 0102391D
	v_cmp_u_f32_e64 s[78:79], v80, v80                         // 000000008C9C: D048004E 0002A150
	v_add3_u32 v248, v80, v251, 1                              // 000000008CA4: D1FF00F8 0207F750
	v_cndmask_b32_e64 v28, v248, v250, s[78:79]                // 000000008CAC: D100001C 013BF5F8
	v_cmp_u_f32_e64 s[78:79], v81, v81                         // 000000008CB4: D048004E 0002A351
	v_add3_u32 v248, v81, v251, 1                              // 000000008CBC: D1FF00F8 0207F751
	v_cndmask_b32_e64 v29, v248, v250, s[78:79]                // 000000008CC4: D100001D 013BF5F8
	v_perm_b32 v76, v29, v28, s64                              // 000000008CCC: D1ED004C 0102391D
	v_cmp_u_f32_e64 s[78:79], v82, v82                         // 000000008CD4: D048004E 0002A552
	v_add3_u32 v248, v82, v251, 1                              // 000000008CDC: D1FF00F8 0207F752
	v_cndmask_b32_e64 v28, v248, v250, s[78:79]                // 000000008CE4: D100001C 013BF5F8
	v_cmp_u_f32_e64 s[78:79], v83, v83                         // 000000008CEC: D048004E 0002A753
	v_add3_u32 v248, v83, v251, 1                              // 000000008CF4: D1FF00F8 0207F753
	v_cndmask_b32_e64 v29, v248, v250, s[78:79]                // 000000008CFC: D100001D 013BF5F8
	v_perm_b32 v77, v29, v28, s64                              // 000000008D04: D1ED004D 0102391D
	v_mfma_f32_16x16x16_bf16 v[212:215], v[122:123], v[146:147], v[212:215]// 000000008D0C: D3E100D4 0753257A
	v_mov_b32_dpp v16, v75 quad_perm:[1,0,3,2] row_mask:0xf bank_mask:0xf// 000000008D14: 7E2002FA FF00B14B
	v_perm_b32 v51, v16, v75, v15                              // 000000008D1C: D1ED0033 043E9710
	v_mov_b32_dpp v16, v76 quad_perm:[1,0,3,2] row_mask:0xf bank_mask:0xf// 000000008D24: 7E2002FA FF00B14C
	v_mfma_f32_16x16x16_bf16 v[216:219], v[108:109], v[148:149], v[216:219]// 000000008D2C: D3E100D8 0763296C
	ds_write_b32 v18, v51 offset:20256                         // 000000008D34: D81A4F20 00003312
	v_mfma_f32_16x16x16_bf16 v[220:223], v[110:111], v[148:149], v[220:223]// 000000008D3C: D3E100DC 0773296E
	v_perm_b32 v52, v16, v76, v15                              // 000000008D44: D1ED0034 043E9910
	v_mov_b32_dpp v16, v77 quad_perm:[1,0,3,2] row_mask:0xf bank_mask:0xf// 000000008D4C: 7E2002FA FF00B14D
	v_perm_b32 v53, v16, v77, v15                              // 000000008D54: D1ED0035 043E9B10
	v_mfma_f32_16x16x16_bf16 v[224:227], v[112:113], v[148:149], v[224:227]// 000000008D5C: D3E100E0 07832970
	ds_write_b32 v18, v52 offset:22016                         // 000000008D64: D81A5600 00003412
	ds_write_b32 v18, v53 offset:22560                         // 000000008D6C: D81A5820 00003512
	v_mfma_f32_16x16x16_bf16 v[228:231], v[114:115], v[148:149], v[228:231]// 000000008D74: D3E100E4 07932972
	v_mfma_f32_16x16x16_bf16 v[232:235], v[116:117], v[148:149], v[232:235]// 000000008D7C: D3E100E8 07A32974
	ds_write_b32 v13, v84 offset:4352                          // 000000008D84: D81A1100 0000540D
	ds_write_b32 v13, v85 offset:5408                          // 000000008D8C: D81A1520 0000550D
	v_mfma_f32_16x16x16_bf16 v[236:239], v[118:119], v[148:149], v[236:239]// 000000008D94: D3E100EC 07B32976
	v_mfma_f32_16x16x16_bf16 v[240:243], v[120:121], v[148:149], v[240:243]// 000000008D9C: D3E100F0 07C32978
	ds_write_b32 v13, v86 offset:4480                          // 000000008DA4: D81A1180 0000560D
	ds_write_b32 v13, v87 offset:5536                          // 000000008DAC: D81A15A0 0000570D
	v_mfma_f32_16x16x16_bf16 v[244:247], v[122:123], v[148:149], v[244:247]// 000000008DB4: D3E100F4 07D3297A
	s_nop 0                                                    // 000000008DBC: BF800000
	s_nop 0                                                    // 000000008DC0: BF800000
	s_nop 0                                                    // 000000008DC4: BF800000
	s_barrier                                                  // 000000008DC8: BF8A0000
	v_mfma_f32_16x16x16_bf16 a[160:163], a[144:145], v[72:73], a[160:163]// 000000008DCC: D3E180A0 0E829190
	ds_read_b32 v124, v21 offset:50688                         // 000000008DD4: D86CC600 7C000015
	ds_read_b32 v150, v21 offset:50944                         // 000000008DDC: D86CC700 96000015
	v_mfma_f32_16x16x16_bf16 a[164:167], a[146:147], v[72:73], a[164:167]// 000000008DE4: D3E180A4 0E929192
	buffer_atomic_add_f32 v136, v7, s[32:35], 0 idxen          // 000000008DEC: E1342000 80088807
	v_mfma_f32_16x16x16_bf16 a[168:171], a[148:149], v[72:73], a[168:171]// 000000008DF4: D3E180A8 0EA29194
	s_waitcnt lgkmcnt(6)                                       // 000000008DFC: BF8CC67F
	s_barrier                                                  // 000000008E00: BF8A0000
	v_mfma_f32_16x16x16_bf16 a[172:175], a[150:151], v[72:73], a[172:175]// 000000008E04: D3E180AC 0EB29196
	v_mfma_f32_16x16x16_bf16 a[176:179], a[152:153], v[72:73], a[176:179]// 000000008E0C: D3E180B0 0EC29198
	ds_read_b128 v[48:51], v17 offset:17408                    // 000000008E14: D9FE4400 30000011
	v_mfma_f32_16x16x16_bf16 a[180:183], a[154:155], v[72:73], a[180:183]// 000000008E1C: D3E180B4 0ED2919A
	v_mfma_f32_16x16x16_bf16 a[184:187], a[156:157], v[72:73], a[184:187]// 000000008E24: D3E180B8 0EE2919C
	ds_read_b128 v[52:55], v17 offset:18560                    // 000000008E2C: D9FE4880 34000011
	v_mfma_f32_16x16x16_bf16 a[188:191], a[158:159], v[72:73], a[188:191]// 000000008E34: D3E180BC 0EF2919E
	buffer_atomic_add_f32 v137, v8, s[32:35], 0 idxen          // 000000008E3C: E1342000 80088908
	v_mfma_f32_16x16x16_bf16 a[192:195], a[144:145], v[74:75], a[192:195]// 000000008E44: D3E180C0 0F029590
	ds_read_b128 v[56:59], v17 offset:19712                    // 000000008E4C: D9FE4D00 38000011
	v_mfma_f32_16x16x16_bf16 a[196:199], a[146:147], v[74:75], a[196:199]// 000000008E54: D3E180C4 0F129592
	v_mfma_f32_16x16x16_bf16 a[200:203], a[148:149], v[74:75], a[200:203]// 000000008E5C: D3E180C8 0F229594
	ds_read_b128 v[60:63], v17 offset:20864                    // 000000008E64: D9FE5180 3C000011
	v_mfma_f32_16x16x16_bf16 a[204:207], a[150:151], v[74:75], a[204:207]// 000000008E6C: D3E180CC 0F329596
	v_mfma_f32_16x16x16_bf16 a[208:211], a[152:153], v[74:75], a[208:211]// 000000008E74: D3E180D0 0F429598
	ds_read_b128 v[64:67], v17 offset:22016                    // 000000008E7C: D9FE5600 40000011
	v_mfma_f32_16x16x16_bf16 a[212:215], a[154:155], v[74:75], a[212:215]// 000000008E84: D3E180D4 0F52959A
	buffer_atomic_add_f32 v138, v7, s[32:35], 0 idxen offset:128// 000000008E8C: E1342080 80088A07
	v_mfma_f32_16x16x16_bf16 a[216:219], a[156:157], v[74:75], a[216:219]// 000000008E94: D3E180D8 0F62959C
	ds_read_b128 v[68:71], v17 offset:23168                    // 000000008E9C: D9FE5A80 44000011
	v_mfma_f32_16x16x16_bf16 a[220:223], a[158:159], v[74:75], a[220:223]// 000000008EA4: D3E180DC 0F72959E
	v_mfma_f32_16x16x16_bf16 a[224:227], a[144:145], v[76:77], a[224:227]// 000000008EAC: D3E180E0 0F829990
	ds_write_b32 v13, v88 offset:13056                         // 000000008EB4: D81A3300 0000580D
	v_mfma_f32_16x16x16_bf16 a[228:231], a[146:147], v[76:77], a[228:231]// 000000008EBC: D3E180E4 0F929992
	v_mfma_f32_16x16x16_bf16 a[232:235], a[148:149], v[76:77], a[232:235]// 000000008EC4: D3E180E8 0FA29994
	ds_write_b32 v13, v89 offset:14112                         // 000000008ECC: D81A3720 0000590D
	v_mfma_f32_16x16x16_bf16 a[236:239], a[150:151], v[76:77], a[236:239]// 000000008ED4: D3E180EC 0FB29996
	buffer_atomic_add_f32 v139, v8, s[32:35], 0 idxen offset:128// 000000008EDC: E1342080 80088B08
	v_mfma_f32_16x16x16_bf16 a[240:243], a[152:153], v[76:77], a[240:243]// 000000008EE4: D3E180F0 0FC29998
	ds_write_b32 v13, v90 offset:13184                         // 000000008EEC: D81A3380 00005A0D
	v_mfma_f32_16x16x16_bf16 a[244:247], a[154:155], v[76:77], a[244:247]// 000000008EF4: D3E180F4 0FD2999A
	v_mfma_f32_16x16x16_bf16 a[248:251], a[156:157], v[76:77], a[248:251]// 000000008EFC: D3E180F8 0FE2999C
	ds_write_b32 v13, v91 offset:14240                         // 000000008F04: D81A37A0 00005B0D
	v_mfma_f32_16x16x16_bf16 a[252:255], a[158:159], v[76:77], a[252:255]// 000000008F0C: D3E180FC 0FF2999E
	s_waitcnt vmcnt(8) lgkmcnt(4)                              // 000000008F14: BF8C0478
	s_barrier                                                  // 000000008F18: BF8A0000
	v_mfma_f32_16x16x16_bf16 v[128:131], v[48:49], a[48:49], 0 // 000000008F1C: D3E10080 12026130
	ds_read_b128 a[144:147], v10                               // 000000008F24: DBFE0000 9000000A
	buffer_load_dword v32, v1, s[8:11], 0 idxen                // 000000008F2C: E0502000 80022001
	v_mfma_f32_16x16x16_bf16 v[128:131], v[50:51], a[52:53], v[128:131]// 000000008F34: D3E10080 16026932
	v_mul_f32_e32 v124, s49, v124                              // 000000008F3C: 0AF8F831
	s_nop 0                                                    // 000000008F40: BF800000
	v_mfma_f32_16x16x16_bf16 v[128:131], v[52:53], a[56:57], v[128:131]// 000000008F44: D3E10080 16027134
	ds_read_b128 a[148:151], v10 offset:512                    // 000000008F4C: DBFE0200 9400000A
	buffer_load_dword v33, v2, s[8:11], 0 idxen                // 000000008F54: E0502000 80022102
	v_mfma_f32_16x16x16_bf16 v[128:131], v[54:55], a[60:61], v[128:131]// 000000008F5C: D3E10080 16027936
	v_mfma_f32_16x16x16_bf16 v[128:131], v[56:57], a[64:65], v[128:131]// 000000008F64: D3E10080 16028138
	ds_read_b128 a[152:155], v10 offset:2176                   // 000000008F6C: DBFE0880 9800000A
	buffer_load_dword v34, v3, s[8:11], 0 idxen                // 000000008F74: E0502000 80022203
	v_mfma_f32_16x16x16_bf16 v[128:131], v[58:59], a[68:69], v[128:131]// 000000008F7C: D3E10080 1602893A
	v_perm_b32 v84, v37, v36, s63                              // 000000008F84: D1ED0054 00FE4925
	v_perm_b32 v85, v37, v36, s64                              // 000000008F8C: D1ED0055 01024925
	v_mfma_f32_16x16x16_bf16 v[128:131], v[60:61], a[72:73], v[128:131]// 000000008F94: D3E10080 1602913C
	ds_read_b128 a[156:159], v10 offset:2688                   // 000000008F9C: DBFE0A80 9C00000A
	buffer_load_dword v35, v4, s[8:11], 0 idxen                // 000000008FA4: E0502000 80022304
	v_mfma_f32_16x16x16_bf16 v[128:131], v[62:63], a[76:77], v[128:131]// 000000008FAC: D3E10080 1602993E
	v_perm_b32 v86, v39, v38, s63                              // 000000008FB4: D1ED0056 00FE4D27
	v_perm_b32 v87, v39, v38, s64                              // 000000008FBC: D1ED0057 01024D27
	v_mfma_f32_16x16x16_bf16 v[128:131], v[64:65], a[80:81], v[128:131]// 000000008FC4: D3E10080 1602A140
	ds_read_b128 v[92:95], v10 offset:8704                     // 000000008FCC: D9FE2200 5C00000A
	buffer_load_dword v40, v1, s[20:23], 0 idxen               // 000000008FD4: E0502000 80052801
	v_mfma_f32_16x16x16_bf16 v[128:131], v[66:67], a[84:85], v[128:131]// 000000008FDC: D3E10080 1602A942
	v_perm_b32 v88, v45, v44, s63                              // 000000008FE4: D1ED0058 00FE592D
	v_perm_b32 v89, v45, v44, s64                              // 000000008FEC: D1ED0059 0102592D
	v_mfma_f32_16x16x16_bf16 v[128:131], v[68:69], a[88:89], v[128:131]// 000000008FF4: D3E10080 1602B144
	ds_read_b128 v[96:99], v10 offset:9216                     // 000000008FFC: D9FE2400 6000000A
	buffer_load_dword v41, v2, s[20:23], 0 idxen               // 000000009004: E0502000 80052902
	v_mfma_f32_16x16x16_bf16 v[128:131], v[70:71], a[92:93], v[128:131]// 00000000900C: D3E10080 1602B946
	v_perm_b32 v90, v47, v46, s63                              // 000000009014: D1ED005A 00FE5D2F
	v_perm_b32 v91, v47, v46, s64                              // 00000000901C: D1ED005B 01025D2F
	v_mfma_f32_16x16x16_bf16 v[132:135], v[48:49], a[50:51], 0 // 000000009024: D3E10084 12026530
	ds_read_b128 v[100:103], v10 offset:10880                  // 00000000902C: D9FE2A80 6400000A
	buffer_load_dword v42, v3, s[20:23], 0 idxen               // 000000009034: E0502000 80052A03
	v_mfma_f32_16x16x16_bf16 v[132:135], v[50:51], a[54:55], v[132:135]// 00000000903C: D3E10084 16126D32
	v_mov_b32_dpp v127, v124 quad_perm:[3,3,3,3] row_mask:0xf bank_mask:0xf// 000000009044: 7EFE02FA FF00FF7C
	v_mov_b32_dpp v126, v124 quad_perm:[2,2,2,2] row_mask:0xf bank_mask:0xf// 00000000904C: 7EFC02FA FF00AA7C
	v_mfma_f32_16x16x16_bf16 v[132:135], v[52:53], a[58:59], v[132:135]// 000000009054: D3E10084 16127534
	ds_read_b128 v[104:107], v10 offset:11392                  // 00000000905C: D9FE2C80 6800000A
	buffer_load_dword v43, v4, s[20:23], 0 idxen               // 000000009064: E0502000 80052B04
	v_mfma_f32_16x16x16_bf16 v[132:135], v[54:55], a[62:63], v[132:135]// 00000000906C: D3E10084 16127D36
	v_mov_b32_dpp v125, v124 quad_perm:[1,1,1,1] row_mask:0xf bank_mask:0xf// 000000009074: 7EFA02FA FF00557C
	v_mov_b32_dpp v124, v124 quad_perm:[0,0,0,0] row_mask:0xf bank_mask:0xf// 00000000907C: 7EF802FA FF00007C
	s_add_u32 s60, 64, s59                                     // 000000009084: 803C3BC0
	v_mfma_f32_16x16x16_bf16 v[132:135], v[56:57], a[66:67], v[132:135]// 000000009088: D3E10084 16128538
	buffer_load_dword v9, s[24:27], 0 idxen lds                // 000000009090: E0512000 80060009
	v_mfma_f32_16x16x16_bf16 v[132:135], v[58:59], a[70:71], v[132:135]// 000000009098: D3E10084 16128D3A
	s_cmp_lt_u32 s60, s58                                      // 0000000090A0: BF0A3A3C
	s_cselect_b32 s68, s68, 0                                  // 0000000090A4: 85448044
	s_cselect_b32 s69, s69, 0                                  // 0000000090A8: 85458045
	v_mfma_f32_16x16x16_bf16 v[132:135], v[60:61], a[74:75], v[132:135]// 0000000090AC: D3E10084 1612953C
	s_add_u32 s8, s68, s8                                      // 0000000090B4: 80080844
	s_addc_u32 s9, 0, s9                                       // 0000000090B8: 82090980
	v_mfma_f32_16x16x16_bf16 v[132:135], v[62:63], a[78:79], v[132:135]// 0000000090BC: D3E10084 16129D3E
	s_add_u32 s20, s68, s20                                    // 0000000090C4: 80141444
	s_addc_u32 s21, 0, s21                                     // 0000000090C8: 82151580
	v_mfma_f32_16x16x16_bf16 v[132:135], v[64:65], a[82:83], v[132:135]// 0000000090CC: D3E10084 1612A540
	s_mov_b32 m0, s81                                          // 0000000090D4: BEFC0051
	v_add_u32_e32 v9, s69, v9                                  // 0000000090D8: 68121245
	v_mfma_f32_16x16x16_bf16 v[132:135], v[66:67], a[86:87], v[132:135]// 0000000090DC: D3E10084 1612AD42
	s_cmp_ge_u32 s59, s73                                      // 0000000090E4: BF09493B
	s_cselect_b32 s66, s67, s66                                // 0000000090E8: 85424243
	v_mfma_f32_16x16x16_bf16 v[132:135], v[68:69], a[90:91], v[132:135]// 0000000090EC: D3E10084 1612B544
	s_addk_i32 s59, 0x10                                       // 0000000090F4: B73B0010
	s_nop 0                                                    // 0000000090F8: BF800000
	s_cmp_lt_i32 s59, s58                                      // 0000000090FC: BF043A3B
	v_mfma_f32_16x16x16_bf16 v[132:135], v[70:71], a[94:95], v[132:135]// 000000009100: D3E10084 1612BD46
	s_cbranch_scc0 label_0E40                                  // 000000009108: BF84F97D
	s_branch label_0E43                                        // 00000000910C: BF82F97F

0000000000009110 <label_14C4>:
	buffer_atomic_add_f32 v140, v7, s[32:35], 0 idxen offset:256// 000000009110: E1342100 80088C07
	buffer_atomic_add_f32 v141, v8, s[32:35], 0 idxen offset:256// 000000009118: E1342100 80088D08
	buffer_atomic_add_f32 v142, v7, s[32:35], 0 idxen offset:384// 000000009120: E1342180 80088E07
	buffer_atomic_add_f32 v143, v8, s[32:35], 0 idxen offset:384// 000000009128: E1342180 80088F08
	s_add_u32 s32, s66, s32                                    // 000000009130: 80202042
	s_addc_u32 s33, 0, s33                                     // 000000009134: 82212180
	v_lshrrev_b32_e32 v28, 5, v0                               // 000000009138: 20380085
	v_mul_i32_i24_e32 v25, 0x42, v28                           // 00000000913C: 0C3238FF 00000042
	v_and_b32_e32 v28, 31, v0                                  // 000000009144: 2638009F
	v_mul_i32_i24_e32 v29, 2, v28                              // 000000009148: 0C3A3882
	v_add_u32_e32 v25, v29, v25                                // 00000000914C: 6832331D
	s_mul_i32 s60, s47, 0x420                                  // 000000009150: 923CFF2F 00000420
	v_add_u32_e32 v25, s60, v25                                // 000000009158: 6832323C
	v_lshlrev_b32_e32 v25, 2, v25                              // 00000000915C: 24323282
	v_mul_f32_e32 v128, s48, v128                              // 000000009160: 0B010030
	v_mul_f32_e32 v129, s48, v129                              // 000000009164: 0B030230
	v_mul_f32_e32 v130, s48, v130                              // 000000009168: 0B050430
	v_mul_f32_e32 v131, s48, v131                              // 00000000916C: 0B070630
	v_mul_f32_e32 v132, s48, v132                              // 000000009170: 0B090830
	v_mul_f32_e32 v133, s48, v133                              // 000000009174: 0B0B0A30
	v_mul_f32_e32 v134, s48, v134                              // 000000009178: 0B0D0C30
	v_mul_f32_e32 v135, s48, v135                              // 00000000917C: 0B0F0E30
	ds_write_b64 v20, v[128:129] offset:24320                  // 000000009180: D89A5F00 00008014
	ds_write_b64 v20, v[130:131] offset:24832                  // 000000009188: D89A6100 00008214
	ds_write_b64 v20, v[132:133] offset:25344                  // 000000009190: D89A6300 00008414
	ds_write_b64 v20, v[134:135] offset:25856                  // 000000009198: D89A6500 00008614
	s_waitcnt lgkmcnt(0)                                       // 0000000091A0: BF8CC07F
	s_barrier                                                  // 0000000091A4: BF8A0000
	ds_read_b64 v[136:137], v19 offset:24320                   // 0000000091A8: D8EC5F00 88000013
	ds_read_b64 v[138:139], v19 offset:26368                   // 0000000091B0: D8EC6700 8A000013
	ds_read_b64 v[140:141], v19 offset:28416                   // 0000000091B8: D8EC6F00 8C000013
	ds_read_b64 v[142:143], v19 offset:30464                   // 0000000091C0: D8EC7700 8E000013
	s_waitcnt lgkmcnt(0)                                       // 0000000091C8: BF8CC07F
	s_barrier                                                  // 0000000091CC: BF8A0000
	buffer_atomic_add_f32 v136, v7, s[32:35], 0 idxen          // 0000000091D0: E1342000 80088807
	buffer_atomic_add_f32 v137, v8, s[32:35], 0 idxen          // 0000000091D8: E1342000 80088908
	buffer_atomic_add_f32 v138, v7, s[32:35], 0 idxen offset:128// 0000000091E0: E1342080 80088A07
	buffer_atomic_add_f32 v139, v8, s[32:35], 0 idxen offset:128// 0000000091E8: E1342080 80088B08
	buffer_atomic_add_f32 v140, v7, s[32:35], 0 idxen offset:256// 0000000091F0: E1342100 80088C07
	buffer_atomic_add_f32 v141, v8, s[32:35], 0 idxen offset:256// 0000000091F8: E1342100 80088D08
	buffer_atomic_add_f32 v142, v7, s[32:35], 0 idxen offset:384// 000000009200: E1342180 80088E07
	buffer_atomic_add_f32 v143, v8, s[32:35], 0 idxen offset:384// 000000009208: E1342180 80088F08
	v_lshrrev_b32_e32 v28, 4, v0                               // 000000009210: 20380084
	v_mul_i32_i24_e32 v24, 2, v28                              // 000000009214: 0C303882
	v_and_b32_e32 v28, 15, v0                                  // 000000009218: 2638008F
	v_mul_i32_i24_e32 v29, 0x42, v28                           // 00000000921C: 0C3A38FF 00000042
	v_add_u32_e32 v24, v29, v24                                // 000000009224: 6830311D
	s_mul_i32 s60, s47, 0x420                                  // 000000009228: 923CFF2F 00000420
	v_add_u32_e32 v24, s60, v24                                // 000000009230: 6830303C
	v_lshlrev_b32_e32 v24, 2, v24                              // 000000009234: 24303082
	v_accvgpr_read_b32 v30, a160                               // 000000009238: D3D8401E 180001A0
	v_accvgpr_read_b32 v31, a161                               // 000000009240: D3D8401F 180001A1
	v_mul_f32_e32 v30, s48, v30                                // 000000009248: 0A3C3C30
	v_mul_f32_e32 v31, s48, v31                                // 00000000924C: 0A3E3E30
	v_cmp_u_f32_e64 s[78:79], v30, v30                         // 000000009250: D048004E 00023D1E
	v_bfe_u32 v248, v30, 16, 1                                 // 000000009258: D1C800F8 0205211E
	v_add3_u32 v248, v30, v248, v251                           // 000000009260: D1FF00F8 07EFF11E
	v_cndmask_b32_e64 v28, v248, v250, s[78:79]                // 000000009268: D100001C 013BF5F8
	v_lshrrev_b32_e32 v28, 16, v28                             // 000000009270: 20383890
	v_cmp_u_f32_e64 s[78:79], v31, v31                         // 000000009274: D048004E 00023F1F
	v_bfe_u32 v248, v31, 16, 1                                 // 00000000927C: D1C800F8 0205211F
	v_add3_u32 v248, v31, v248, v251                           // 000000009284: D1FF00F8 07EFF11F
	v_cndmask_b32_e64 v29, v248, v250, s[78:79]                // 00000000928C: D100001D 013BF5F8
	v_and_or_b32 v48, v29, v249, v28                           // 000000009294: D2010030 0473F31D
	v_accvgpr_read_b32 v30, a162                               // 00000000929C: D3D8401E 180001A2
	v_accvgpr_read_b32 v31, a163                               // 0000000092A4: D3D8401F 180001A3
	v_mul_f32_e32 v30, s48, v30                                // 0000000092AC: 0A3C3C30
	v_mul_f32_e32 v31, s48, v31                                // 0000000092B0: 0A3E3E30
	v_cmp_u_f32_e64 s[78:79], v30, v30                         // 0000000092B4: D048004E 00023D1E
	v_bfe_u32 v248, v30, 16, 1                                 // 0000000092BC: D1C800F8 0205211E
	v_add3_u32 v248, v30, v248, v251                           // 0000000092C4: D1FF00F8 07EFF11E
	v_cndmask_b32_e64 v28, v248, v250, s[78:79]                // 0000000092CC: D100001C 013BF5F8
	v_lshrrev_b32_e32 v28, 16, v28                             // 0000000092D4: 20383890
	v_cmp_u_f32_e64 s[78:79], v31, v31                         // 0000000092D8: D048004E 00023F1F
	v_bfe_u32 v248, v31, 16, 1                                 // 0000000092E0: D1C800F8 0205211F
	v_add3_u32 v248, v31, v248, v251                           // 0000000092E8: D1FF00F8 07EFF11F
	v_cndmask_b32_e64 v29, v248, v250, s[78:79]                // 0000000092F0: D100001D 013BF5F8
	v_and_or_b32 v49, v29, v249, v28                           // 0000000092F8: D2010031 0473F31D
	v_accvgpr_read_b32 v30, a164                               // 000000009300: D3D8401E 180001A4
	v_accvgpr_read_b32 v31, a165                               // 000000009308: D3D8401F 180001A5
	v_mul_f32_e32 v30, s48, v30                                // 000000009310: 0A3C3C30
	v_mul_f32_e32 v31, s48, v31                                // 000000009314: 0A3E3E30
	v_cmp_u_f32_e64 s[78:79], v30, v30                         // 000000009318: D048004E 00023D1E
	v_bfe_u32 v248, v30, 16, 1                                 // 000000009320: D1C800F8 0205211E
	v_add3_u32 v248, v30, v248, v251                           // 000000009328: D1FF00F8 07EFF11E
	v_cndmask_b32_e64 v28, v248, v250, s[78:79]                // 000000009330: D100001C 013BF5F8
	v_lshrrev_b32_e32 v28, 16, v28                             // 000000009338: 20383890
	v_cmp_u_f32_e64 s[78:79], v31, v31                         // 00000000933C: D048004E 00023F1F
	v_bfe_u32 v248, v31, 16, 1                                 // 000000009344: D1C800F8 0205211F
	v_add3_u32 v248, v31, v248, v251                           // 00000000934C: D1FF00F8 07EFF11F
	v_cndmask_b32_e64 v29, v248, v250, s[78:79]                // 000000009354: D100001D 013BF5F8
	v_and_or_b32 v50, v29, v249, v28                           // 00000000935C: D2010032 0473F31D
	v_accvgpr_read_b32 v30, a166                               // 000000009364: D3D8401E 180001A6
	v_accvgpr_read_b32 v31, a167                               // 00000000936C: D3D8401F 180001A7
	v_mul_f32_e32 v30, s48, v30                                // 000000009374: 0A3C3C30
	v_mul_f32_e32 v31, s48, v31                                // 000000009378: 0A3E3E30
	v_cmp_u_f32_e64 s[78:79], v30, v30                         // 00000000937C: D048004E 00023D1E
	v_bfe_u32 v248, v30, 16, 1                                 // 000000009384: D1C800F8 0205211E
	v_add3_u32 v248, v30, v248, v251                           // 00000000938C: D1FF00F8 07EFF11E
	v_cndmask_b32_e64 v28, v248, v250, s[78:79]                // 000000009394: D100001C 013BF5F8
	v_lshrrev_b32_e32 v28, 16, v28                             // 00000000939C: 20383890
	v_cmp_u_f32_e64 s[78:79], v31, v31                         // 0000000093A0: D048004E 00023F1F
	v_bfe_u32 v248, v31, 16, 1                                 // 0000000093A8: D1C800F8 0205211F
	v_add3_u32 v248, v31, v248, v251                           // 0000000093B0: D1FF00F8 07EFF11F
	v_cndmask_b32_e64 v29, v248, v250, s[78:79]                // 0000000093B8: D100001D 013BF5F8
	v_and_or_b32 v51, v29, v249, v28                           // 0000000093C0: D2010033 0473F31D
	v_accvgpr_read_b32 v30, a168                               // 0000000093C8: D3D8401E 180001A8
	v_accvgpr_read_b32 v31, a169                               // 0000000093D0: D3D8401F 180001A9
	v_mul_f32_e32 v30, s48, v30                                // 0000000093D8: 0A3C3C30
	v_mul_f32_e32 v31, s48, v31                                // 0000000093DC: 0A3E3E30
	v_cmp_u_f32_e64 s[78:79], v30, v30                         // 0000000093E0: D048004E 00023D1E
	v_bfe_u32 v248, v30, 16, 1                                 // 0000000093E8: D1C800F8 0205211E
	v_add3_u32 v248, v30, v248, v251                           // 0000000093F0: D1FF00F8 07EFF11E
	v_cndmask_b32_e64 v28, v248, v250, s[78:79]                // 0000000093F8: D100001C 013BF5F8
	v_lshrrev_b32_e32 v28, 16, v28                             // 000000009400: 20383890
	v_cmp_u_f32_e64 s[78:79], v31, v31                         // 000000009404: D048004E 00023F1F
	v_bfe_u32 v248, v31, 16, 1                                 // 00000000940C: D1C800F8 0205211F
	v_add3_u32 v248, v31, v248, v251                           // 000000009414: D1FF00F8 07EFF11F
	v_cndmask_b32_e64 v29, v248, v250, s[78:79]                // 00000000941C: D100001D 013BF5F8
	v_and_or_b32 v52, v29, v249, v28                           // 000000009424: D2010034 0473F31D
	v_accvgpr_read_b32 v30, a170                               // 00000000942C: D3D8401E 180001AA
	v_accvgpr_read_b32 v31, a171                               // 000000009434: D3D8401F 180001AB
	v_mul_f32_e32 v30, s48, v30                                // 00000000943C: 0A3C3C30
	v_mul_f32_e32 v31, s48, v31                                // 000000009440: 0A3E3E30
	v_cmp_u_f32_e64 s[78:79], v30, v30                         // 000000009444: D048004E 00023D1E
	v_bfe_u32 v248, v30, 16, 1                                 // 00000000944C: D1C800F8 0205211E
	v_add3_u32 v248, v30, v248, v251                           // 000000009454: D1FF00F8 07EFF11E
	v_cndmask_b32_e64 v28, v248, v250, s[78:79]                // 00000000945C: D100001C 013BF5F8
	v_lshrrev_b32_e32 v28, 16, v28                             // 000000009464: 20383890
	v_cmp_u_f32_e64 s[78:79], v31, v31                         // 000000009468: D048004E 00023F1F
	v_bfe_u32 v248, v31, 16, 1                                 // 000000009470: D1C800F8 0205211F
	v_add3_u32 v248, v31, v248, v251                           // 000000009478: D1FF00F8 07EFF11F
	v_cndmask_b32_e64 v29, v248, v250, s[78:79]                // 000000009480: D100001D 013BF5F8
	v_and_or_b32 v53, v29, v249, v28                           // 000000009488: D2010035 0473F31D
	v_accvgpr_read_b32 v30, a172                               // 000000009490: D3D8401E 180001AC
	v_accvgpr_read_b32 v31, a173                               // 000000009498: D3D8401F 180001AD
	v_mul_f32_e32 v30, s48, v30                                // 0000000094A0: 0A3C3C30
	v_mul_f32_e32 v31, s48, v31                                // 0000000094A4: 0A3E3E30
	v_cmp_u_f32_e64 s[78:79], v30, v30                         // 0000000094A8: D048004E 00023D1E
	v_bfe_u32 v248, v30, 16, 1                                 // 0000000094B0: D1C800F8 0205211E
	v_add3_u32 v248, v30, v248, v251                           // 0000000094B8: D1FF00F8 07EFF11E
	v_cndmask_b32_e64 v28, v248, v250, s[78:79]                // 0000000094C0: D100001C 013BF5F8
	v_lshrrev_b32_e32 v28, 16, v28                             // 0000000094C8: 20383890
	v_cmp_u_f32_e64 s[78:79], v31, v31                         // 0000000094CC: D048004E 00023F1F
	v_bfe_u32 v248, v31, 16, 1                                 // 0000000094D4: D1C800F8 0205211F
	v_add3_u32 v248, v31, v248, v251                           // 0000000094DC: D1FF00F8 07EFF11F
	v_cndmask_b32_e64 v29, v248, v250, s[78:79]                // 0000000094E4: D100001D 013BF5F8
	v_and_or_b32 v54, v29, v249, v28                           // 0000000094EC: D2010036 0473F31D
	v_accvgpr_read_b32 v30, a174                               // 0000000094F4: D3D8401E 180001AE
	v_accvgpr_read_b32 v31, a175                               // 0000000094FC: D3D8401F 180001AF
	v_mul_f32_e32 v30, s48, v30                                // 000000009504: 0A3C3C30
	v_mul_f32_e32 v31, s48, v31                                // 000000009508: 0A3E3E30
	v_cmp_u_f32_e64 s[78:79], v30, v30                         // 00000000950C: D048004E 00023D1E
	v_bfe_u32 v248, v30, 16, 1                                 // 000000009514: D1C800F8 0205211E
	v_add3_u32 v248, v30, v248, v251                           // 00000000951C: D1FF00F8 07EFF11E
	v_cndmask_b32_e64 v28, v248, v250, s[78:79]                // 000000009524: D100001C 013BF5F8
	v_lshrrev_b32_e32 v28, 16, v28                             // 00000000952C: 20383890
	v_cmp_u_f32_e64 s[78:79], v31, v31                         // 000000009530: D048004E 00023F1F
	v_bfe_u32 v248, v31, 16, 1                                 // 000000009538: D1C800F8 0205211F
	v_add3_u32 v248, v31, v248, v251                           // 000000009540: D1FF00F8 07EFF11F
	v_cndmask_b32_e64 v29, v248, v250, s[78:79]                // 000000009548: D100001D 013BF5F8
	v_and_or_b32 v55, v29, v249, v28                           // 000000009550: D2010037 0473F31D
	v_accvgpr_read_b32 v30, a176                               // 000000009558: D3D8401E 180001B0
	v_accvgpr_read_b32 v31, a177                               // 000000009560: D3D8401F 180001B1
	v_mul_f32_e32 v30, s48, v30                                // 000000009568: 0A3C3C30
	v_mul_f32_e32 v31, s48, v31                                // 00000000956C: 0A3E3E30
	v_cmp_u_f32_e64 s[78:79], v30, v30                         // 000000009570: D048004E 00023D1E
	v_bfe_u32 v248, v30, 16, 1                                 // 000000009578: D1C800F8 0205211E
	v_add3_u32 v248, v30, v248, v251                           // 000000009580: D1FF00F8 07EFF11E
	v_cndmask_b32_e64 v28, v248, v250, s[78:79]                // 000000009588: D100001C 013BF5F8
	v_lshrrev_b32_e32 v28, 16, v28                             // 000000009590: 20383890
	v_cmp_u_f32_e64 s[78:79], v31, v31                         // 000000009594: D048004E 00023F1F
	v_bfe_u32 v248, v31, 16, 1                                 // 00000000959C: D1C800F8 0205211F
	v_add3_u32 v248, v31, v248, v251                           // 0000000095A4: D1FF00F8 07EFF11F
	v_cndmask_b32_e64 v29, v248, v250, s[78:79]                // 0000000095AC: D100001D 013BF5F8
	v_and_or_b32 v56, v29, v249, v28                           // 0000000095B4: D2010038 0473F31D
	v_accvgpr_read_b32 v30, a178                               // 0000000095BC: D3D8401E 180001B2
	v_accvgpr_read_b32 v31, a179                               // 0000000095C4: D3D8401F 180001B3
	v_mul_f32_e32 v30, s48, v30                                // 0000000095CC: 0A3C3C30
	v_mul_f32_e32 v31, s48, v31                                // 0000000095D0: 0A3E3E30
	v_cmp_u_f32_e64 s[78:79], v30, v30                         // 0000000095D4: D048004E 00023D1E
	v_bfe_u32 v248, v30, 16, 1                                 // 0000000095DC: D1C800F8 0205211E
	v_add3_u32 v248, v30, v248, v251                           // 0000000095E4: D1FF00F8 07EFF11E
	v_cndmask_b32_e64 v28, v248, v250, s[78:79]                // 0000000095EC: D100001C 013BF5F8
	v_lshrrev_b32_e32 v28, 16, v28                             // 0000000095F4: 20383890
	v_cmp_u_f32_e64 s[78:79], v31, v31                         // 0000000095F8: D048004E 00023F1F
	v_bfe_u32 v248, v31, 16, 1                                 // 000000009600: D1C800F8 0205211F
	v_add3_u32 v248, v31, v248, v251                           // 000000009608: D1FF00F8 07EFF11F
	v_cndmask_b32_e64 v29, v248, v250, s[78:79]                // 000000009610: D100001D 013BF5F8
	v_and_or_b32 v57, v29, v249, v28                           // 000000009618: D2010039 0473F31D
	v_accvgpr_read_b32 v30, a180                               // 000000009620: D3D8401E 180001B4
	v_accvgpr_read_b32 v31, a181                               // 000000009628: D3D8401F 180001B5
	v_mul_f32_e32 v30, s48, v30                                // 000000009630: 0A3C3C30
	v_mul_f32_e32 v31, s48, v31                                // 000000009634: 0A3E3E30
	v_cmp_u_f32_e64 s[78:79], v30, v30                         // 000000009638: D048004E 00023D1E
	v_bfe_u32 v248, v30, 16, 1                                 // 000000009640: D1C800F8 0205211E
	v_add3_u32 v248, v30, v248, v251                           // 000000009648: D1FF00F8 07EFF11E
	v_cndmask_b32_e64 v28, v248, v250, s[78:79]                // 000000009650: D100001C 013BF5F8
	v_lshrrev_b32_e32 v28, 16, v28                             // 000000009658: 20383890
	v_cmp_u_f32_e64 s[78:79], v31, v31                         // 00000000965C: D048004E 00023F1F
	v_bfe_u32 v248, v31, 16, 1                                 // 000000009664: D1C800F8 0205211F
	v_add3_u32 v248, v31, v248, v251                           // 00000000966C: D1FF00F8 07EFF11F
	v_cndmask_b32_e64 v29, v248, v250, s[78:79]                // 000000009674: D100001D 013BF5F8
	v_and_or_b32 v58, v29, v249, v28                           // 00000000967C: D201003A 0473F31D
	v_accvgpr_read_b32 v30, a182                               // 000000009684: D3D8401E 180001B6
	v_accvgpr_read_b32 v31, a183                               // 00000000968C: D3D8401F 180001B7
	v_mul_f32_e32 v30, s48, v30                                // 000000009694: 0A3C3C30
	v_mul_f32_e32 v31, s48, v31                                // 000000009698: 0A3E3E30
	v_cmp_u_f32_e64 s[78:79], v30, v30                         // 00000000969C: D048004E 00023D1E
	v_bfe_u32 v248, v30, 16, 1                                 // 0000000096A4: D1C800F8 0205211E
	v_add3_u32 v248, v30, v248, v251                           // 0000000096AC: D1FF00F8 07EFF11E
	v_cndmask_b32_e64 v28, v248, v250, s[78:79]                // 0000000096B4: D100001C 013BF5F8
	v_lshrrev_b32_e32 v28, 16, v28                             // 0000000096BC: 20383890
	v_cmp_u_f32_e64 s[78:79], v31, v31                         // 0000000096C0: D048004E 00023F1F
	v_bfe_u32 v248, v31, 16, 1                                 // 0000000096C8: D1C800F8 0205211F
	v_add3_u32 v248, v31, v248, v251                           // 0000000096D0: D1FF00F8 07EFF11F
	v_cndmask_b32_e64 v29, v248, v250, s[78:79]                // 0000000096D8: D100001D 013BF5F8
	v_and_or_b32 v59, v29, v249, v28                           // 0000000096E0: D201003B 0473F31D
	v_accvgpr_read_b32 v30, a184                               // 0000000096E8: D3D8401E 180001B8
	v_accvgpr_read_b32 v31, a185                               // 0000000096F0: D3D8401F 180001B9
	v_mul_f32_e32 v30, s48, v30                                // 0000000096F8: 0A3C3C30
	v_mul_f32_e32 v31, s48, v31                                // 0000000096FC: 0A3E3E30
	v_cmp_u_f32_e64 s[78:79], v30, v30                         // 000000009700: D048004E 00023D1E
	v_bfe_u32 v248, v30, 16, 1                                 // 000000009708: D1C800F8 0205211E
	v_add3_u32 v248, v30, v248, v251                           // 000000009710: D1FF00F8 07EFF11E
	v_cndmask_b32_e64 v28, v248, v250, s[78:79]                // 000000009718: D100001C 013BF5F8
	v_lshrrev_b32_e32 v28, 16, v28                             // 000000009720: 20383890
	v_cmp_u_f32_e64 s[78:79], v31, v31                         // 000000009724: D048004E 00023F1F
	v_bfe_u32 v248, v31, 16, 1                                 // 00000000972C: D1C800F8 0205211F
	v_add3_u32 v248, v31, v248, v251                           // 000000009734: D1FF00F8 07EFF11F
	v_cndmask_b32_e64 v29, v248, v250, s[78:79]                // 00000000973C: D100001D 013BF5F8
	v_and_or_b32 v60, v29, v249, v28                           // 000000009744: D201003C 0473F31D
	v_accvgpr_read_b32 v30, a186                               // 00000000974C: D3D8401E 180001BA
	v_accvgpr_read_b32 v31, a187                               // 000000009754: D3D8401F 180001BB
	v_mul_f32_e32 v30, s48, v30                                // 00000000975C: 0A3C3C30
	v_mul_f32_e32 v31, s48, v31                                // 000000009760: 0A3E3E30
	v_cmp_u_f32_e64 s[78:79], v30, v30                         // 000000009764: D048004E 00023D1E
	v_bfe_u32 v248, v30, 16, 1                                 // 00000000976C: D1C800F8 0205211E
	v_add3_u32 v248, v30, v248, v251                           // 000000009774: D1FF00F8 07EFF11E
	v_cndmask_b32_e64 v28, v248, v250, s[78:79]                // 00000000977C: D100001C 013BF5F8
	v_lshrrev_b32_e32 v28, 16, v28                             // 000000009784: 20383890
	v_cmp_u_f32_e64 s[78:79], v31, v31                         // 000000009788: D048004E 00023F1F
	v_bfe_u32 v248, v31, 16, 1                                 // 000000009790: D1C800F8 0205211F
	v_add3_u32 v248, v31, v248, v251                           // 000000009798: D1FF00F8 07EFF11F
	v_cndmask_b32_e64 v29, v248, v250, s[78:79]                // 0000000097A0: D100001D 013BF5F8
	v_and_or_b32 v61, v29, v249, v28                           // 0000000097A8: D201003D 0473F31D
	v_accvgpr_read_b32 v30, a188                               // 0000000097B0: D3D8401E 180001BC
	v_accvgpr_read_b32 v31, a189                               // 0000000097B8: D3D8401F 180001BD
	v_mul_f32_e32 v30, s48, v30                                // 0000000097C0: 0A3C3C30
	v_mul_f32_e32 v31, s48, v31                                // 0000000097C4: 0A3E3E30
	v_cmp_u_f32_e64 s[78:79], v30, v30                         // 0000000097C8: D048004E 00023D1E
	v_bfe_u32 v248, v30, 16, 1                                 // 0000000097D0: D1C800F8 0205211E
	v_add3_u32 v248, v30, v248, v251                           // 0000000097D8: D1FF00F8 07EFF11E
	v_cndmask_b32_e64 v28, v248, v250, s[78:79]                // 0000000097E0: D100001C 013BF5F8
	v_lshrrev_b32_e32 v28, 16, v28                             // 0000000097E8: 20383890
	v_cmp_u_f32_e64 s[78:79], v31, v31                         // 0000000097EC: D048004E 00023F1F
	v_bfe_u32 v248, v31, 16, 1                                 // 0000000097F4: D1C800F8 0205211F
	v_add3_u32 v248, v31, v248, v251                           // 0000000097FC: D1FF00F8 07EFF11F
	v_cndmask_b32_e64 v29, v248, v250, s[78:79]                // 000000009804: D100001D 013BF5F8
	v_and_or_b32 v62, v29, v249, v28                           // 00000000980C: D201003E 0473F31D
	v_accvgpr_read_b32 v30, a190                               // 000000009814: D3D8401E 180001BE
	v_accvgpr_read_b32 v31, a191                               // 00000000981C: D3D8401F 180001BF
	v_mul_f32_e32 v30, s48, v30                                // 000000009824: 0A3C3C30
	v_mul_f32_e32 v31, s48, v31                                // 000000009828: 0A3E3E30
	v_cmp_u_f32_e64 s[78:79], v30, v30                         // 00000000982C: D048004E 00023D1E
	v_bfe_u32 v248, v30, 16, 1                                 // 000000009834: D1C800F8 0205211E
	v_add3_u32 v248, v30, v248, v251                           // 00000000983C: D1FF00F8 07EFF11E
	v_cndmask_b32_e64 v28, v248, v250, s[78:79]                // 000000009844: D100001C 013BF5F8
	v_lshrrev_b32_e32 v28, 16, v28                             // 00000000984C: 20383890
	v_cmp_u_f32_e64 s[78:79], v31, v31                         // 000000009850: D048004E 00023F1F
	v_bfe_u32 v248, v31, 16, 1                                 // 000000009858: D1C800F8 0205211F
	v_add3_u32 v248, v31, v248, v251                           // 000000009860: D1FF00F8 07EFF11F
	v_cndmask_b32_e64 v29, v248, v250, s[78:79]                // 000000009868: D100001D 013BF5F8
	v_and_or_b32 v63, v29, v249, v28                           // 000000009870: D201003F 0473F31D
	ds_write_b64 v25, v[48:49]                                 // 000000009878: D89A0000 00003019
	ds_write_b64 v25, v[50:51] offset:528                      // 000000009880: D89A0210 00003219
	ds_write_b64 v25, v[52:53] offset:1056                     // 000000009888: D89A0420 00003419
	ds_write_b64 v25, v[54:55] offset:1584                     // 000000009890: D89A0630 00003619
	ds_write_b64 v25, v[56:57] offset:2112                     // 000000009898: D89A0840 00003819
	ds_write_b64 v25, v[58:59] offset:2640                     // 0000000098A0: D89A0A50 00003A19
	ds_write_b64 v25, v[60:61] offset:3168                     // 0000000098A8: D89A0C60 00003C19
	ds_write_b64 v25, v[62:63] offset:3696                     // 0000000098B0: D89A0E70 00003E19
	s_waitcnt lgkmcnt(0)                                       // 0000000098B8: BF8CC07F
	s_barrier                                                  // 0000000098BC: BF8A0000
	ds_read_b64 v[48:49], v24                                  // 0000000098C0: D8EC0000 30000018
	ds_read_b64 v[50:51], v24 offset:128                       // 0000000098C8: D8EC0080 32000018
	ds_read_b64 v[52:53], v24 offset:32                        // 0000000098D0: D8EC0020 34000018
	ds_read_b64 v[54:55], v24 offset:160                       // 0000000098D8: D8EC00A0 36000018
	ds_read_b64 v[56:57], v24 offset:64                        // 0000000098E0: D8EC0040 38000018
	ds_read_b64 v[58:59], v24 offset:192                       // 0000000098E8: D8EC00C0 3A000018
	ds_read_b64 v[60:61], v24 offset:96                        // 0000000098F0: D8EC0060 3C000018
	ds_read_b64 v[62:63], v24 offset:224                       // 0000000098F8: D8EC00E0 3E000018
	s_waitcnt lgkmcnt(0)                                       // 000000009900: BF8CC07F
	buffer_store_dwordx4 v[48:51], v5, s[36:39], 0 idxen       // 000000009904: E07C2000 80093005
	v_add_u32_e32 v5, s46, v5                                  // 00000000990C: 680A0A2E
	buffer_store_dwordx4 v[52:55], v5, s[36:39], 0 idxen       // 000000009910: E07C2000 80093405
	v_add_u32_e32 v5, s46, v5                                  // 000000009918: 680A0A2E
	buffer_store_dwordx4 v[56:59], v5, s[36:39], 0 idxen       // 00000000991C: E07C2000 80093805
	v_add_u32_e32 v5, s46, v5                                  // 000000009924: 680A0A2E
	buffer_store_dwordx4 v[60:63], v5, s[36:39], 0 idxen       // 000000009928: E07C2000 80093C05
	v_add_u32_e32 v5, s46, v5                                  // 000000009930: 680A0A2E
	s_mul_i32 s60, 12, s46                                     // 000000009934: 923C2E8C
	v_add_u32_e32 v5, s60, v5                                  // 000000009938: 680A0A3C
	s_barrier                                                  // 00000000993C: BF8A0000
	s_cmp_ge_i32 1, s72                                        // 000000009940: BF034881
	s_cbranch_scc1 label_1A5A                                  // 000000009944: BF850388
	v_accvgpr_read_b32 v30, a192                               // 000000009948: D3D8401E 180001C0
	v_accvgpr_read_b32 v31, a193                               // 000000009950: D3D8401F 180001C1
	v_mul_f32_e32 v30, s48, v30                                // 000000009958: 0A3C3C30
	v_mul_f32_e32 v31, s48, v31                                // 00000000995C: 0A3E3E30
	v_cmp_u_f32_e64 s[78:79], v30, v30                         // 000000009960: D048004E 00023D1E
	v_bfe_u32 v248, v30, 16, 1                                 // 000000009968: D1C800F8 0205211E
	v_add3_u32 v248, v30, v248, v251                           // 000000009970: D1FF00F8 07EFF11E
	v_cndmask_b32_e64 v28, v248, v250, s[78:79]                // 000000009978: D100001C 013BF5F8
	v_lshrrev_b32_e32 v28, 16, v28                             // 000000009980: 20383890
	v_cmp_u_f32_e64 s[78:79], v31, v31                         // 000000009984: D048004E 00023F1F
	v_bfe_u32 v248, v31, 16, 1                                 // 00000000998C: D1C800F8 0205211F
	v_add3_u32 v248, v31, v248, v251                           // 000000009994: D1FF00F8 07EFF11F
	v_cndmask_b32_e64 v29, v248, v250, s[78:79]                // 00000000999C: D100001D 013BF5F8
	v_and_or_b32 v64, v29, v249, v28                           // 0000000099A4: D2010040 0473F31D
	v_accvgpr_read_b32 v30, a194                               // 0000000099AC: D3D8401E 180001C2
	v_accvgpr_read_b32 v31, a195                               // 0000000099B4: D3D8401F 180001C3
	v_mul_f32_e32 v30, s48, v30                                // 0000000099BC: 0A3C3C30
	v_mul_f32_e32 v31, s48, v31                                // 0000000099C0: 0A3E3E30
	v_cmp_u_f32_e64 s[78:79], v30, v30                         // 0000000099C4: D048004E 00023D1E
	v_bfe_u32 v248, v30, 16, 1                                 // 0000000099CC: D1C800F8 0205211E
	v_add3_u32 v248, v30, v248, v251                           // 0000000099D4: D1FF00F8 07EFF11E
	v_cndmask_b32_e64 v28, v248, v250, s[78:79]                // 0000000099DC: D100001C 013BF5F8
	v_lshrrev_b32_e32 v28, 16, v28                             // 0000000099E4: 20383890
	v_cmp_u_f32_e64 s[78:79], v31, v31                         // 0000000099E8: D048004E 00023F1F
	v_bfe_u32 v248, v31, 16, 1                                 // 0000000099F0: D1C800F8 0205211F
	v_add3_u32 v248, v31, v248, v251                           // 0000000099F8: D1FF00F8 07EFF11F
	v_cndmask_b32_e64 v29, v248, v250, s[78:79]                // 000000009A00: D100001D 013BF5F8
	v_and_or_b32 v65, v29, v249, v28                           // 000000009A08: D2010041 0473F31D
	v_accvgpr_read_b32 v30, a196                               // 000000009A10: D3D8401E 180001C4
	v_accvgpr_read_b32 v31, a197                               // 000000009A18: D3D8401F 180001C5
	v_mul_f32_e32 v30, s48, v30                                // 000000009A20: 0A3C3C30
	v_mul_f32_e32 v31, s48, v31                                // 000000009A24: 0A3E3E30
	v_cmp_u_f32_e64 s[78:79], v30, v30                         // 000000009A28: D048004E 00023D1E
	v_bfe_u32 v248, v30, 16, 1                                 // 000000009A30: D1C800F8 0205211E
	v_add3_u32 v248, v30, v248, v251                           // 000000009A38: D1FF00F8 07EFF11E
	v_cndmask_b32_e64 v28, v248, v250, s[78:79]                // 000000009A40: D100001C 013BF5F8
	v_lshrrev_b32_e32 v28, 16, v28                             // 000000009A48: 20383890
	v_cmp_u_f32_e64 s[78:79], v31, v31                         // 000000009A4C: D048004E 00023F1F
	v_bfe_u32 v248, v31, 16, 1                                 // 000000009A54: D1C800F8 0205211F
	v_add3_u32 v248, v31, v248, v251                           // 000000009A5C: D1FF00F8 07EFF11F
	v_cndmask_b32_e64 v29, v248, v250, s[78:79]                // 000000009A64: D100001D 013BF5F8
	v_and_or_b32 v66, v29, v249, v28                           // 000000009A6C: D2010042 0473F31D
	v_accvgpr_read_b32 v30, a198                               // 000000009A74: D3D8401E 180001C6
	v_accvgpr_read_b32 v31, a199                               // 000000009A7C: D3D8401F 180001C7
	v_mul_f32_e32 v30, s48, v30                                // 000000009A84: 0A3C3C30
	v_mul_f32_e32 v31, s48, v31                                // 000000009A88: 0A3E3E30
	v_cmp_u_f32_e64 s[78:79], v30, v30                         // 000000009A8C: D048004E 00023D1E
	v_bfe_u32 v248, v30, 16, 1                                 // 000000009A94: D1C800F8 0205211E
	v_add3_u32 v248, v30, v248, v251                           // 000000009A9C: D1FF00F8 07EFF11E
	v_cndmask_b32_e64 v28, v248, v250, s[78:79]                // 000000009AA4: D100001C 013BF5F8
	v_lshrrev_b32_e32 v28, 16, v28                             // 000000009AAC: 20383890
	v_cmp_u_f32_e64 s[78:79], v31, v31                         // 000000009AB0: D048004E 00023F1F
	v_bfe_u32 v248, v31, 16, 1                                 // 000000009AB8: D1C800F8 0205211F
	v_add3_u32 v248, v31, v248, v251                           // 000000009AC0: D1FF00F8 07EFF11F
	v_cndmask_b32_e64 v29, v248, v250, s[78:79]                // 000000009AC8: D100001D 013BF5F8
	v_and_or_b32 v67, v29, v249, v28                           // 000000009AD0: D2010043 0473F31D
	v_accvgpr_read_b32 v30, a200                               // 000000009AD8: D3D8401E 180001C8
	v_accvgpr_read_b32 v31, a201                               // 000000009AE0: D3D8401F 180001C9
	v_mul_f32_e32 v30, s48, v30                                // 000000009AE8: 0A3C3C30
	v_mul_f32_e32 v31, s48, v31                                // 000000009AEC: 0A3E3E30
	v_cmp_u_f32_e64 s[78:79], v30, v30                         // 000000009AF0: D048004E 00023D1E
	v_bfe_u32 v248, v30, 16, 1                                 // 000000009AF8: D1C800F8 0205211E
	v_add3_u32 v248, v30, v248, v251                           // 000000009B00: D1FF00F8 07EFF11E
	v_cndmask_b32_e64 v28, v248, v250, s[78:79]                // 000000009B08: D100001C 013BF5F8
	v_lshrrev_b32_e32 v28, 16, v28                             // 000000009B10: 20383890
	v_cmp_u_f32_e64 s[78:79], v31, v31                         // 000000009B14: D048004E 00023F1F
	v_bfe_u32 v248, v31, 16, 1                                 // 000000009B1C: D1C800F8 0205211F
	v_add3_u32 v248, v31, v248, v251                           // 000000009B24: D1FF00F8 07EFF11F
	v_cndmask_b32_e64 v29, v248, v250, s[78:79]                // 000000009B2C: D100001D 013BF5F8
	v_and_or_b32 v68, v29, v249, v28                           // 000000009B34: D2010044 0473F31D
	v_accvgpr_read_b32 v30, a202                               // 000000009B3C: D3D8401E 180001CA
	v_accvgpr_read_b32 v31, a203                               // 000000009B44: D3D8401F 180001CB
	v_mul_f32_e32 v30, s48, v30                                // 000000009B4C: 0A3C3C30
	v_mul_f32_e32 v31, s48, v31                                // 000000009B50: 0A3E3E30
	v_cmp_u_f32_e64 s[78:79], v30, v30                         // 000000009B54: D048004E 00023D1E
	v_bfe_u32 v248, v30, 16, 1                                 // 000000009B5C: D1C800F8 0205211E
	v_add3_u32 v248, v30, v248, v251                           // 000000009B64: D1FF00F8 07EFF11E
	v_cndmask_b32_e64 v28, v248, v250, s[78:79]                // 000000009B6C: D100001C 013BF5F8
	v_lshrrev_b32_e32 v28, 16, v28                             // 000000009B74: 20383890
	v_cmp_u_f32_e64 s[78:79], v31, v31                         // 000000009B78: D048004E 00023F1F
	v_bfe_u32 v248, v31, 16, 1                                 // 000000009B80: D1C800F8 0205211F
	v_add3_u32 v248, v31, v248, v251                           // 000000009B88: D1FF00F8 07EFF11F
	v_cndmask_b32_e64 v29, v248, v250, s[78:79]                // 000000009B90: D100001D 013BF5F8
	v_and_or_b32 v69, v29, v249, v28                           // 000000009B98: D2010045 0473F31D
	v_accvgpr_read_b32 v30, a204                               // 000000009BA0: D3D8401E 180001CC
	v_accvgpr_read_b32 v31, a205                               // 000000009BA8: D3D8401F 180001CD
	v_mul_f32_e32 v30, s48, v30                                // 000000009BB0: 0A3C3C30
	v_mul_f32_e32 v31, s48, v31                                // 000000009BB4: 0A3E3E30
	v_cmp_u_f32_e64 s[78:79], v30, v30                         // 000000009BB8: D048004E 00023D1E
	v_bfe_u32 v248, v30, 16, 1                                 // 000000009BC0: D1C800F8 0205211E
	v_add3_u32 v248, v30, v248, v251                           // 000000009BC8: D1FF00F8 07EFF11E
	v_cndmask_b32_e64 v28, v248, v250, s[78:79]                // 000000009BD0: D100001C 013BF5F8
	v_lshrrev_b32_e32 v28, 16, v28                             // 000000009BD8: 20383890
	v_cmp_u_f32_e64 s[78:79], v31, v31                         // 000000009BDC: D048004E 00023F1F
	v_bfe_u32 v248, v31, 16, 1                                 // 000000009BE4: D1C800F8 0205211F
	v_add3_u32 v248, v31, v248, v251                           // 000000009BEC: D1FF00F8 07EFF11F
	v_cndmask_b32_e64 v29, v248, v250, s[78:79]                // 000000009BF4: D100001D 013BF5F8
	v_and_or_b32 v70, v29, v249, v28                           // 000000009BFC: D2010046 0473F31D
	v_accvgpr_read_b32 v30, a206                               // 000000009C04: D3D8401E 180001CE
	v_accvgpr_read_b32 v31, a207                               // 000000009C0C: D3D8401F 180001CF
	v_mul_f32_e32 v30, s48, v30                                // 000000009C14: 0A3C3C30
	v_mul_f32_e32 v31, s48, v31                                // 000000009C18: 0A3E3E30
	v_cmp_u_f32_e64 s[78:79], v30, v30                         // 000000009C1C: D048004E 00023D1E
	v_bfe_u32 v248, v30, 16, 1                                 // 000000009C24: D1C800F8 0205211E
	v_add3_u32 v248, v30, v248, v251                           // 000000009C2C: D1FF00F8 07EFF11E
	v_cndmask_b32_e64 v28, v248, v250, s[78:79]                // 000000009C34: D100001C 013BF5F8
	v_lshrrev_b32_e32 v28, 16, v28                             // 000000009C3C: 20383890
	v_cmp_u_f32_e64 s[78:79], v31, v31                         // 000000009C40: D048004E 00023F1F
	v_bfe_u32 v248, v31, 16, 1                                 // 000000009C48: D1C800F8 0205211F
	v_add3_u32 v248, v31, v248, v251                           // 000000009C50: D1FF00F8 07EFF11F
	v_cndmask_b32_e64 v29, v248, v250, s[78:79]                // 000000009C58: D100001D 013BF5F8
	v_and_or_b32 v71, v29, v249, v28                           // 000000009C60: D2010047 0473F31D
	v_accvgpr_read_b32 v30, a208                               // 000000009C68: D3D8401E 180001D0
	v_accvgpr_read_b32 v31, a209                               // 000000009C70: D3D8401F 180001D1
	v_mul_f32_e32 v30, s48, v30                                // 000000009C78: 0A3C3C30
	v_mul_f32_e32 v31, s48, v31                                // 000000009C7C: 0A3E3E30
	v_cmp_u_f32_e64 s[78:79], v30, v30                         // 000000009C80: D048004E 00023D1E
	v_bfe_u32 v248, v30, 16, 1                                 // 000000009C88: D1C800F8 0205211E
	v_add3_u32 v248, v30, v248, v251                           // 000000009C90: D1FF00F8 07EFF11E
	v_cndmask_b32_e64 v28, v248, v250, s[78:79]                // 000000009C98: D100001C 013BF5F8
	v_lshrrev_b32_e32 v28, 16, v28                             // 000000009CA0: 20383890
	v_cmp_u_f32_e64 s[78:79], v31, v31                         // 000000009CA4: D048004E 00023F1F
	v_bfe_u32 v248, v31, 16, 1                                 // 000000009CAC: D1C800F8 0205211F
	v_add3_u32 v248, v31, v248, v251                           // 000000009CB4: D1FF00F8 07EFF11F
	v_cndmask_b32_e64 v29, v248, v250, s[78:79]                // 000000009CBC: D100001D 013BF5F8
	v_and_or_b32 v72, v29, v249, v28                           // 000000009CC4: D2010048 0473F31D
	v_accvgpr_read_b32 v30, a210                               // 000000009CCC: D3D8401E 180001D2
	v_accvgpr_read_b32 v31, a211                               // 000000009CD4: D3D8401F 180001D3
	v_mul_f32_e32 v30, s48, v30                                // 000000009CDC: 0A3C3C30
	v_mul_f32_e32 v31, s48, v31                                // 000000009CE0: 0A3E3E30
	v_cmp_u_f32_e64 s[78:79], v30, v30                         // 000000009CE4: D048004E 00023D1E
	v_bfe_u32 v248, v30, 16, 1                                 // 000000009CEC: D1C800F8 0205211E
	v_add3_u32 v248, v30, v248, v251                           // 000000009CF4: D1FF00F8 07EFF11E
	v_cndmask_b32_e64 v28, v248, v250, s[78:79]                // 000000009CFC: D100001C 013BF5F8
	v_lshrrev_b32_e32 v28, 16, v28                             // 000000009D04: 20383890
	v_cmp_u_f32_e64 s[78:79], v31, v31                         // 000000009D08: D048004E 00023F1F
	v_bfe_u32 v248, v31, 16, 1                                 // 000000009D10: D1C800F8 0205211F
	v_add3_u32 v248, v31, v248, v251                           // 000000009D18: D1FF00F8 07EFF11F
	v_cndmask_b32_e64 v29, v248, v250, s[78:79]                // 000000009D20: D100001D 013BF5F8
	v_and_or_b32 v73, v29, v249, v28                           // 000000009D28: D2010049 0473F31D
	v_accvgpr_read_b32 v30, a212                               // 000000009D30: D3D8401E 180001D4
	v_accvgpr_read_b32 v31, a213                               // 000000009D38: D3D8401F 180001D5
	v_mul_f32_e32 v30, s48, v30                                // 000000009D40: 0A3C3C30
	v_mul_f32_e32 v31, s48, v31                                // 000000009D44: 0A3E3E30
	v_cmp_u_f32_e64 s[78:79], v30, v30                         // 000000009D48: D048004E 00023D1E
	v_bfe_u32 v248, v30, 16, 1                                 // 000000009D50: D1C800F8 0205211E
	v_add3_u32 v248, v30, v248, v251                           // 000000009D58: D1FF00F8 07EFF11E
	v_cndmask_b32_e64 v28, v248, v250, s[78:79]                // 000000009D60: D100001C 013BF5F8
	v_lshrrev_b32_e32 v28, 16, v28                             // 000000009D68: 20383890
	v_cmp_u_f32_e64 s[78:79], v31, v31                         // 000000009D6C: D048004E 00023F1F
	v_bfe_u32 v248, v31, 16, 1                                 // 000000009D74: D1C800F8 0205211F
	v_add3_u32 v248, v31, v248, v251                           // 000000009D7C: D1FF00F8 07EFF11F
	v_cndmask_b32_e64 v29, v248, v250, s[78:79]                // 000000009D84: D100001D 013BF5F8
	v_and_or_b32 v74, v29, v249, v28                           // 000000009D8C: D201004A 0473F31D
	v_accvgpr_read_b32 v30, a214                               // 000000009D94: D3D8401E 180001D6
	v_accvgpr_read_b32 v31, a215                               // 000000009D9C: D3D8401F 180001D7
	v_mul_f32_e32 v30, s48, v30                                // 000000009DA4: 0A3C3C30
	v_mul_f32_e32 v31, s48, v31                                // 000000009DA8: 0A3E3E30
	v_cmp_u_f32_e64 s[78:79], v30, v30                         // 000000009DAC: D048004E 00023D1E
	v_bfe_u32 v248, v30, 16, 1                                 // 000000009DB4: D1C800F8 0205211E
	v_add3_u32 v248, v30, v248, v251                           // 000000009DBC: D1FF00F8 07EFF11E
	v_cndmask_b32_e64 v28, v248, v250, s[78:79]                // 000000009DC4: D100001C 013BF5F8
	v_lshrrev_b32_e32 v28, 16, v28                             // 000000009DCC: 20383890
	v_cmp_u_f32_e64 s[78:79], v31, v31                         // 000000009DD0: D048004E 00023F1F
	v_bfe_u32 v248, v31, 16, 1                                 // 000000009DD8: D1C800F8 0205211F
	v_add3_u32 v248, v31, v248, v251                           // 000000009DE0: D1FF00F8 07EFF11F
	v_cndmask_b32_e64 v29, v248, v250, s[78:79]                // 000000009DE8: D100001D 013BF5F8
	v_and_or_b32 v75, v29, v249, v28                           // 000000009DF0: D201004B 0473F31D
	v_accvgpr_read_b32 v30, a216                               // 000000009DF8: D3D8401E 180001D8
	v_accvgpr_read_b32 v31, a217                               // 000000009E00: D3D8401F 180001D9
	v_mul_f32_e32 v30, s48, v30                                // 000000009E08: 0A3C3C30
	v_mul_f32_e32 v31, s48, v31                                // 000000009E0C: 0A3E3E30
	v_cmp_u_f32_e64 s[78:79], v30, v30                         // 000000009E10: D048004E 00023D1E
	v_bfe_u32 v248, v30, 16, 1                                 // 000000009E18: D1C800F8 0205211E
	v_add3_u32 v248, v30, v248, v251                           // 000000009E20: D1FF00F8 07EFF11E
	v_cndmask_b32_e64 v28, v248, v250, s[78:79]                // 000000009E28: D100001C 013BF5F8
	v_lshrrev_b32_e32 v28, 16, v28                             // 000000009E30: 20383890
	v_cmp_u_f32_e64 s[78:79], v31, v31                         // 000000009E34: D048004E 00023F1F
	v_bfe_u32 v248, v31, 16, 1                                 // 000000009E3C: D1C800F8 0205211F
	v_add3_u32 v248, v31, v248, v251                           // 000000009E44: D1FF00F8 07EFF11F
	v_cndmask_b32_e64 v29, v248, v250, s[78:79]                // 000000009E4C: D100001D 013BF5F8
	v_and_or_b32 v76, v29, v249, v28                           // 000000009E54: D201004C 0473F31D
	v_accvgpr_read_b32 v30, a218                               // 000000009E5C: D3D8401E 180001DA
	v_accvgpr_read_b32 v31, a219                               // 000000009E64: D3D8401F 180001DB
	v_mul_f32_e32 v30, s48, v30                                // 000000009E6C: 0A3C3C30
	v_mul_f32_e32 v31, s48, v31                                // 000000009E70: 0A3E3E30
	v_cmp_u_f32_e64 s[78:79], v30, v30                         // 000000009E74: D048004E 00023D1E
	v_bfe_u32 v248, v30, 16, 1                                 // 000000009E7C: D1C800F8 0205211E
	v_add3_u32 v248, v30, v248, v251                           // 000000009E84: D1FF00F8 07EFF11E
	v_cndmask_b32_e64 v28, v248, v250, s[78:79]                // 000000009E8C: D100001C 013BF5F8
	v_lshrrev_b32_e32 v28, 16, v28                             // 000000009E94: 20383890
	v_cmp_u_f32_e64 s[78:79], v31, v31                         // 000000009E98: D048004E 00023F1F
	v_bfe_u32 v248, v31, 16, 1                                 // 000000009EA0: D1C800F8 0205211F
	v_add3_u32 v248, v31, v248, v251                           // 000000009EA8: D1FF00F8 07EFF11F
	v_cndmask_b32_e64 v29, v248, v250, s[78:79]                // 000000009EB0: D100001D 013BF5F8
	v_and_or_b32 v77, v29, v249, v28                           // 000000009EB8: D201004D 0473F31D
	v_accvgpr_read_b32 v30, a220                               // 000000009EC0: D3D8401E 180001DC
	v_accvgpr_read_b32 v31, a221                               // 000000009EC8: D3D8401F 180001DD
	v_mul_f32_e32 v30, s48, v30                                // 000000009ED0: 0A3C3C30
	v_mul_f32_e32 v31, s48, v31                                // 000000009ED4: 0A3E3E30
	v_cmp_u_f32_e64 s[78:79], v30, v30                         // 000000009ED8: D048004E 00023D1E
	v_bfe_u32 v248, v30, 16, 1                                 // 000000009EE0: D1C800F8 0205211E
	v_add3_u32 v248, v30, v248, v251                           // 000000009EE8: D1FF00F8 07EFF11E
	v_cndmask_b32_e64 v28, v248, v250, s[78:79]                // 000000009EF0: D100001C 013BF5F8
	v_lshrrev_b32_e32 v28, 16, v28                             // 000000009EF8: 20383890
	v_cmp_u_f32_e64 s[78:79], v31, v31                         // 000000009EFC: D048004E 00023F1F
	v_bfe_u32 v248, v31, 16, 1                                 // 000000009F04: D1C800F8 0205211F
	v_add3_u32 v248, v31, v248, v251                           // 000000009F0C: D1FF00F8 07EFF11F
	v_cndmask_b32_e64 v29, v248, v250, s[78:79]                // 000000009F14: D100001D 013BF5F8
	v_and_or_b32 v78, v29, v249, v28                           // 000000009F1C: D201004E 0473F31D
	v_accvgpr_read_b32 v30, a222                               // 000000009F24: D3D8401E 180001DE
	v_accvgpr_read_b32 v31, a223                               // 000000009F2C: D3D8401F 180001DF
	v_mul_f32_e32 v30, s48, v30                                // 000000009F34: 0A3C3C30
	v_mul_f32_e32 v31, s48, v31                                // 000000009F38: 0A3E3E30
	v_cmp_u_f32_e64 s[78:79], v30, v30                         // 000000009F3C: D048004E 00023D1E
	v_bfe_u32 v248, v30, 16, 1                                 // 000000009F44: D1C800F8 0205211E
	v_add3_u32 v248, v30, v248, v251                           // 000000009F4C: D1FF00F8 07EFF11E
	v_cndmask_b32_e64 v28, v248, v250, s[78:79]                // 000000009F54: D100001C 013BF5F8
	v_lshrrev_b32_e32 v28, 16, v28                             // 000000009F5C: 20383890
	v_cmp_u_f32_e64 s[78:79], v31, v31                         // 000000009F60: D048004E 00023F1F
	v_bfe_u32 v248, v31, 16, 1                                 // 000000009F68: D1C800F8 0205211F
	v_add3_u32 v248, v31, v248, v251                           // 000000009F70: D1FF00F8 07EFF11F
	v_cndmask_b32_e64 v29, v248, v250, s[78:79]                // 000000009F78: D100001D 013BF5F8
	v_and_or_b32 v79, v29, v249, v28                           // 000000009F80: D201004F 0473F31D
	ds_write_b64 v25, v[64:65] offset:16896                    // 000000009F88: D89A4200 00004019
	ds_write_b64 v25, v[66:67] offset:17424                    // 000000009F90: D89A4410 00004219
	ds_write_b64 v25, v[68:69] offset:17952                    // 000000009F98: D89A4620 00004419
	ds_write_b64 v25, v[70:71] offset:18480                    // 000000009FA0: D89A4830 00004619
	ds_write_b64 v25, v[72:73] offset:19008                    // 000000009FA8: D89A4A40 00004819
	ds_write_b64 v25, v[74:75] offset:19536                    // 000000009FB0: D89A4C50 00004A19
	ds_write_b64 v25, v[76:77] offset:20064                    // 000000009FB8: D89A4E60 00004C19
	ds_write_b64 v25, v[78:79] offset:20592                    // 000000009FC0: D89A5070 00004E19
	s_waitcnt lgkmcnt(0)                                       // 000000009FC8: BF8CC07F
	s_barrier                                                  // 000000009FCC: BF8A0000
	ds_read_b64 v[64:65], v24 offset:16896                     // 000000009FD0: D8EC4200 40000018
	ds_read_b64 v[66:67], v24 offset:17024                     // 000000009FD8: D8EC4280 42000018
	ds_read_b64 v[68:69], v24 offset:16928                     // 000000009FE0: D8EC4220 44000018
	ds_read_b64 v[70:71], v24 offset:17056                     // 000000009FE8: D8EC42A0 46000018
	ds_read_b64 v[72:73], v24 offset:16960                     // 000000009FF0: D8EC4240 48000018
	ds_read_b64 v[74:75], v24 offset:17088                     // 000000009FF8: D8EC42C0 4A000018
	ds_read_b64 v[76:77], v24 offset:16992                     // 00000000A000: D8EC4260 4C000018
	ds_read_b64 v[78:79], v24 offset:17120                     // 00000000A008: D8EC42E0 4E000018
	s_waitcnt lgkmcnt(0)                                       // 00000000A010: BF8CC07F
	buffer_store_dwordx4 v[64:67], v5, s[36:39], 0 idxen       // 00000000A014: E07C2000 80094005
	v_add_u32_e32 v5, s46, v5                                  // 00000000A01C: 680A0A2E
	buffer_store_dwordx4 v[68:71], v5, s[36:39], 0 idxen       // 00000000A020: E07C2000 80094405
	v_add_u32_e32 v5, s46, v5                                  // 00000000A028: 680A0A2E
	buffer_store_dwordx4 v[72:75], v5, s[36:39], 0 idxen       // 00000000A02C: E07C2000 80094805
	v_add_u32_e32 v5, s46, v5                                  // 00000000A034: 680A0A2E
	buffer_store_dwordx4 v[76:79], v5, s[36:39], 0 idxen       // 00000000A038: E07C2000 80094C05
	v_add_u32_e32 v5, s46, v5                                  // 00000000A040: 680A0A2E
	s_mul_i32 s60, 12, s46                                     // 00000000A044: 923C2E8C
	v_add_u32_e32 v5, s60, v5                                  // 00000000A048: 680A0A3C
	s_barrier                                                  // 00000000A04C: BF8A0000
	s_cmp_ge_i32 2, s72                                        // 00000000A050: BF034882
	s_cbranch_scc1 label_1A5A                                  // 00000000A054: BF8501C4
	v_accvgpr_read_b32 v30, a224                               // 00000000A058: D3D8401E 180001E0
	v_accvgpr_read_b32 v31, a225                               // 00000000A060: D3D8401F 180001E1
	v_mul_f32_e32 v30, s48, v30                                // 00000000A068: 0A3C3C30
	v_mul_f32_e32 v31, s48, v31                                // 00000000A06C: 0A3E3E30
	v_cmp_u_f32_e64 s[78:79], v30, v30                         // 00000000A070: D048004E 00023D1E
	v_bfe_u32 v248, v30, 16, 1                                 // 00000000A078: D1C800F8 0205211E
	v_add3_u32 v248, v30, v248, v251                           // 00000000A080: D1FF00F8 07EFF11E
	v_cndmask_b32_e64 v28, v248, v250, s[78:79]                // 00000000A088: D100001C 013BF5F8
	v_lshrrev_b32_e32 v28, 16, v28                             // 00000000A090: 20383890
	v_cmp_u_f32_e64 s[78:79], v31, v31                         // 00000000A094: D048004E 00023F1F
	v_bfe_u32 v248, v31, 16, 1                                 // 00000000A09C: D1C800F8 0205211F
	v_add3_u32 v248, v31, v248, v251                           // 00000000A0A4: D1FF00F8 07EFF11F
	v_cndmask_b32_e64 v29, v248, v250, s[78:79]                // 00000000A0AC: D100001D 013BF5F8
	v_and_or_b32 v80, v29, v249, v28                           // 00000000A0B4: D2010050 0473F31D
	v_accvgpr_read_b32 v30, a226                               // 00000000A0BC: D3D8401E 180001E2
	v_accvgpr_read_b32 v31, a227                               // 00000000A0C4: D3D8401F 180001E3
	v_mul_f32_e32 v30, s48, v30                                // 00000000A0CC: 0A3C3C30
	v_mul_f32_e32 v31, s48, v31                                // 00000000A0D0: 0A3E3E30
	v_cmp_u_f32_e64 s[78:79], v30, v30                         // 00000000A0D4: D048004E 00023D1E
	v_bfe_u32 v248, v30, 16, 1                                 // 00000000A0DC: D1C800F8 0205211E
	v_add3_u32 v248, v30, v248, v251                           // 00000000A0E4: D1FF00F8 07EFF11E
	v_cndmask_b32_e64 v28, v248, v250, s[78:79]                // 00000000A0EC: D100001C 013BF5F8
	v_lshrrev_b32_e32 v28, 16, v28                             // 00000000A0F4: 20383890
	v_cmp_u_f32_e64 s[78:79], v31, v31                         // 00000000A0F8: D048004E 00023F1F
	v_bfe_u32 v248, v31, 16, 1                                 // 00000000A100: D1C800F8 0205211F
	v_add3_u32 v248, v31, v248, v251                           // 00000000A108: D1FF00F8 07EFF11F
	v_cndmask_b32_e64 v29, v248, v250, s[78:79]                // 00000000A110: D100001D 013BF5F8
	v_and_or_b32 v81, v29, v249, v28                           // 00000000A118: D2010051 0473F31D
	v_accvgpr_read_b32 v30, a228                               // 00000000A120: D3D8401E 180001E4
	v_accvgpr_read_b32 v31, a229                               // 00000000A128: D3D8401F 180001E5
	v_mul_f32_e32 v30, s48, v30                                // 00000000A130: 0A3C3C30
	v_mul_f32_e32 v31, s48, v31                                // 00000000A134: 0A3E3E30
	v_cmp_u_f32_e64 s[78:79], v30, v30                         // 00000000A138: D048004E 00023D1E
	v_bfe_u32 v248, v30, 16, 1                                 // 00000000A140: D1C800F8 0205211E
	v_add3_u32 v248, v30, v248, v251                           // 00000000A148: D1FF00F8 07EFF11E
	v_cndmask_b32_e64 v28, v248, v250, s[78:79]                // 00000000A150: D100001C 013BF5F8
	v_lshrrev_b32_e32 v28, 16, v28                             // 00000000A158: 20383890
	v_cmp_u_f32_e64 s[78:79], v31, v31                         // 00000000A15C: D048004E 00023F1F
	v_bfe_u32 v248, v31, 16, 1                                 // 00000000A164: D1C800F8 0205211F
	v_add3_u32 v248, v31, v248, v251                           // 00000000A16C: D1FF00F8 07EFF11F
	v_cndmask_b32_e64 v29, v248, v250, s[78:79]                // 00000000A174: D100001D 013BF5F8
	v_and_or_b32 v82, v29, v249, v28                           // 00000000A17C: D2010052 0473F31D
	v_accvgpr_read_b32 v30, a230                               // 00000000A184: D3D8401E 180001E6
	v_accvgpr_read_b32 v31, a231                               // 00000000A18C: D3D8401F 180001E7
	v_mul_f32_e32 v30, s48, v30                                // 00000000A194: 0A3C3C30
	v_mul_f32_e32 v31, s48, v31                                // 00000000A198: 0A3E3E30
	v_cmp_u_f32_e64 s[78:79], v30, v30                         // 00000000A19C: D048004E 00023D1E
	v_bfe_u32 v248, v30, 16, 1                                 // 00000000A1A4: D1C800F8 0205211E
	v_add3_u32 v248, v30, v248, v251                           // 00000000A1AC: D1FF00F8 07EFF11E
	v_cndmask_b32_e64 v28, v248, v250, s[78:79]                // 00000000A1B4: D100001C 013BF5F8
	v_lshrrev_b32_e32 v28, 16, v28                             // 00000000A1BC: 20383890
	v_cmp_u_f32_e64 s[78:79], v31, v31                         // 00000000A1C0: D048004E 00023F1F
	v_bfe_u32 v248, v31, 16, 1                                 // 00000000A1C8: D1C800F8 0205211F
	v_add3_u32 v248, v31, v248, v251                           // 00000000A1D0: D1FF00F8 07EFF11F
	v_cndmask_b32_e64 v29, v248, v250, s[78:79]                // 00000000A1D8: D100001D 013BF5F8
	v_and_or_b32 v83, v29, v249, v28                           // 00000000A1E0: D2010053 0473F31D
	v_accvgpr_read_b32 v30, a232                               // 00000000A1E8: D3D8401E 180001E8
	v_accvgpr_read_b32 v31, a233                               // 00000000A1F0: D3D8401F 180001E9
	v_mul_f32_e32 v30, s48, v30                                // 00000000A1F8: 0A3C3C30
	v_mul_f32_e32 v31, s48, v31                                // 00000000A1FC: 0A3E3E30
	v_cmp_u_f32_e64 s[78:79], v30, v30                         // 00000000A200: D048004E 00023D1E
	v_bfe_u32 v248, v30, 16, 1                                 // 00000000A208: D1C800F8 0205211E
	v_add3_u32 v248, v30, v248, v251                           // 00000000A210: D1FF00F8 07EFF11E
	v_cndmask_b32_e64 v28, v248, v250, s[78:79]                // 00000000A218: D100001C 013BF5F8
	v_lshrrev_b32_e32 v28, 16, v28                             // 00000000A220: 20383890
	v_cmp_u_f32_e64 s[78:79], v31, v31                         // 00000000A224: D048004E 00023F1F
	v_bfe_u32 v248, v31, 16, 1                                 // 00000000A22C: D1C800F8 0205211F
	v_add3_u32 v248, v31, v248, v251                           // 00000000A234: D1FF00F8 07EFF11F
	v_cndmask_b32_e64 v29, v248, v250, s[78:79]                // 00000000A23C: D100001D 013BF5F8
	v_and_or_b32 v84, v29, v249, v28                           // 00000000A244: D2010054 0473F31D
	v_accvgpr_read_b32 v30, a234                               // 00000000A24C: D3D8401E 180001EA
	v_accvgpr_read_b32 v31, a235                               // 00000000A254: D3D8401F 180001EB
	v_mul_f32_e32 v30, s48, v30                                // 00000000A25C: 0A3C3C30
	v_mul_f32_e32 v31, s48, v31                                // 00000000A260: 0A3E3E30
	v_cmp_u_f32_e64 s[78:79], v30, v30                         // 00000000A264: D048004E 00023D1E
	v_bfe_u32 v248, v30, 16, 1                                 // 00000000A26C: D1C800F8 0205211E
	v_add3_u32 v248, v30, v248, v251                           // 00000000A274: D1FF00F8 07EFF11E
	v_cndmask_b32_e64 v28, v248, v250, s[78:79]                // 00000000A27C: D100001C 013BF5F8
	v_lshrrev_b32_e32 v28, 16, v28                             // 00000000A284: 20383890
	v_cmp_u_f32_e64 s[78:79], v31, v31                         // 00000000A288: D048004E 00023F1F
	v_bfe_u32 v248, v31, 16, 1                                 // 00000000A290: D1C800F8 0205211F
	v_add3_u32 v248, v31, v248, v251                           // 00000000A298: D1FF00F8 07EFF11F
	v_cndmask_b32_e64 v29, v248, v250, s[78:79]                // 00000000A2A0: D100001D 013BF5F8
	v_and_or_b32 v85, v29, v249, v28                           // 00000000A2A8: D2010055 0473F31D
	v_accvgpr_read_b32 v30, a236                               // 00000000A2B0: D3D8401E 180001EC
	v_accvgpr_read_b32 v31, a237                               // 00000000A2B8: D3D8401F 180001ED
	v_mul_f32_e32 v30, s48, v30                                // 00000000A2C0: 0A3C3C30
	v_mul_f32_e32 v31, s48, v31                                // 00000000A2C4: 0A3E3E30
	v_cmp_u_f32_e64 s[78:79], v30, v30                         // 00000000A2C8: D048004E 00023D1E
	v_bfe_u32 v248, v30, 16, 1                                 // 00000000A2D0: D1C800F8 0205211E
	v_add3_u32 v248, v30, v248, v251                           // 00000000A2D8: D1FF00F8 07EFF11E
	v_cndmask_b32_e64 v28, v248, v250, s[78:79]                // 00000000A2E0: D100001C 013BF5F8
	v_lshrrev_b32_e32 v28, 16, v28                             // 00000000A2E8: 20383890
	v_cmp_u_f32_e64 s[78:79], v31, v31                         // 00000000A2EC: D048004E 00023F1F
	v_bfe_u32 v248, v31, 16, 1                                 // 00000000A2F4: D1C800F8 0205211F
	v_add3_u32 v248, v31, v248, v251                           // 00000000A2FC: D1FF00F8 07EFF11F
	v_cndmask_b32_e64 v29, v248, v250, s[78:79]                // 00000000A304: D100001D 013BF5F8
	v_and_or_b32 v86, v29, v249, v28                           // 00000000A30C: D2010056 0473F31D
	v_accvgpr_read_b32 v30, a238                               // 00000000A314: D3D8401E 180001EE
	v_accvgpr_read_b32 v31, a239                               // 00000000A31C: D3D8401F 180001EF
	v_mul_f32_e32 v30, s48, v30                                // 00000000A324: 0A3C3C30
	v_mul_f32_e32 v31, s48, v31                                // 00000000A328: 0A3E3E30
	v_cmp_u_f32_e64 s[78:79], v30, v30                         // 00000000A32C: D048004E 00023D1E
	v_bfe_u32 v248, v30, 16, 1                                 // 00000000A334: D1C800F8 0205211E
	v_add3_u32 v248, v30, v248, v251                           // 00000000A33C: D1FF00F8 07EFF11E
	v_cndmask_b32_e64 v28, v248, v250, s[78:79]                // 00000000A344: D100001C 013BF5F8
	v_lshrrev_b32_e32 v28, 16, v28                             // 00000000A34C: 20383890
	v_cmp_u_f32_e64 s[78:79], v31, v31                         // 00000000A350: D048004E 00023F1F
	v_bfe_u32 v248, v31, 16, 1                                 // 00000000A358: D1C800F8 0205211F
	v_add3_u32 v248, v31, v248, v251                           // 00000000A360: D1FF00F8 07EFF11F
	v_cndmask_b32_e64 v29, v248, v250, s[78:79]                // 00000000A368: D100001D 013BF5F8
	v_and_or_b32 v87, v29, v249, v28                           // 00000000A370: D2010057 0473F31D
	v_accvgpr_read_b32 v30, a240                               // 00000000A378: D3D8401E 180001F0
	v_accvgpr_read_b32 v31, a241                               // 00000000A380: D3D8401F 180001F1
	v_mul_f32_e32 v30, s48, v30                                // 00000000A388: 0A3C3C30
	v_mul_f32_e32 v31, s48, v31                                // 00000000A38C: 0A3E3E30
	v_cmp_u_f32_e64 s[78:79], v30, v30                         // 00000000A390: D048004E 00023D1E
	v_bfe_u32 v248, v30, 16, 1                                 // 00000000A398: D1C800F8 0205211E
	v_add3_u32 v248, v30, v248, v251                           // 00000000A3A0: D1FF00F8 07EFF11E
	v_cndmask_b32_e64 v28, v248, v250, s[78:79]                // 00000000A3A8: D100001C 013BF5F8
	v_lshrrev_b32_e32 v28, 16, v28                             // 00000000A3B0: 20383890
	v_cmp_u_f32_e64 s[78:79], v31, v31                         // 00000000A3B4: D048004E 00023F1F
	v_bfe_u32 v248, v31, 16, 1                                 // 00000000A3BC: D1C800F8 0205211F
	v_add3_u32 v248, v31, v248, v251                           // 00000000A3C4: D1FF00F8 07EFF11F
	v_cndmask_b32_e64 v29, v248, v250, s[78:79]                // 00000000A3CC: D100001D 013BF5F8
	v_and_or_b32 v88, v29, v249, v28                           // 00000000A3D4: D2010058 0473F31D
	v_accvgpr_read_b32 v30, a242                               // 00000000A3DC: D3D8401E 180001F2
	v_accvgpr_read_b32 v31, a243                               // 00000000A3E4: D3D8401F 180001F3
	v_mul_f32_e32 v30, s48, v30                                // 00000000A3EC: 0A3C3C30
	v_mul_f32_e32 v31, s48, v31                                // 00000000A3F0: 0A3E3E30
	v_cmp_u_f32_e64 s[78:79], v30, v30                         // 00000000A3F4: D048004E 00023D1E
	v_bfe_u32 v248, v30, 16, 1                                 // 00000000A3FC: D1C800F8 0205211E
	v_add3_u32 v248, v30, v248, v251                           // 00000000A404: D1FF00F8 07EFF11E
	v_cndmask_b32_e64 v28, v248, v250, s[78:79]                // 00000000A40C: D100001C 013BF5F8
	v_lshrrev_b32_e32 v28, 16, v28                             // 00000000A414: 20383890
	v_cmp_u_f32_e64 s[78:79], v31, v31                         // 00000000A418: D048004E 00023F1F
	v_bfe_u32 v248, v31, 16, 1                                 // 00000000A420: D1C800F8 0205211F
	v_add3_u32 v248, v31, v248, v251                           // 00000000A428: D1FF00F8 07EFF11F
	v_cndmask_b32_e64 v29, v248, v250, s[78:79]                // 00000000A430: D100001D 013BF5F8
	v_and_or_b32 v89, v29, v249, v28                           // 00000000A438: D2010059 0473F31D
	v_accvgpr_read_b32 v30, a244                               // 00000000A440: D3D8401E 180001F4
	v_accvgpr_read_b32 v31, a245                               // 00000000A448: D3D8401F 180001F5
	v_mul_f32_e32 v30, s48, v30                                // 00000000A450: 0A3C3C30
	v_mul_f32_e32 v31, s48, v31                                // 00000000A454: 0A3E3E30
	v_cmp_u_f32_e64 s[78:79], v30, v30                         // 00000000A458: D048004E 00023D1E
	v_bfe_u32 v248, v30, 16, 1                                 // 00000000A460: D1C800F8 0205211E
	v_add3_u32 v248, v30, v248, v251                           // 00000000A468: D1FF00F8 07EFF11E
	v_cndmask_b32_e64 v28, v248, v250, s[78:79]                // 00000000A470: D100001C 013BF5F8
	v_lshrrev_b32_e32 v28, 16, v28                             // 00000000A478: 20383890
	v_cmp_u_f32_e64 s[78:79], v31, v31                         // 00000000A47C: D048004E 00023F1F
	v_bfe_u32 v248, v31, 16, 1                                 // 00000000A484: D1C800F8 0205211F
	v_add3_u32 v248, v31, v248, v251                           // 00000000A48C: D1FF00F8 07EFF11F
	v_cndmask_b32_e64 v29, v248, v250, s[78:79]                // 00000000A494: D100001D 013BF5F8
	v_and_or_b32 v90, v29, v249, v28                           // 00000000A49C: D201005A 0473F31D
	v_accvgpr_read_b32 v30, a246                               // 00000000A4A4: D3D8401E 180001F6
	v_accvgpr_read_b32 v31, a247                               // 00000000A4AC: D3D8401F 180001F7
	v_mul_f32_e32 v30, s48, v30                                // 00000000A4B4: 0A3C3C30
	v_mul_f32_e32 v31, s48, v31                                // 00000000A4B8: 0A3E3E30
	v_cmp_u_f32_e64 s[78:79], v30, v30                         // 00000000A4BC: D048004E 00023D1E
	v_bfe_u32 v248, v30, 16, 1                                 // 00000000A4C4: D1C800F8 0205211E
	v_add3_u32 v248, v30, v248, v251                           // 00000000A4CC: D1FF00F8 07EFF11E
	v_cndmask_b32_e64 v28, v248, v250, s[78:79]                // 00000000A4D4: D100001C 013BF5F8
	v_lshrrev_b32_e32 v28, 16, v28                             // 00000000A4DC: 20383890
	v_cmp_u_f32_e64 s[78:79], v31, v31                         // 00000000A4E0: D048004E 00023F1F
	v_bfe_u32 v248, v31, 16, 1                                 // 00000000A4E8: D1C800F8 0205211F
	v_add3_u32 v248, v31, v248, v251                           // 00000000A4F0: D1FF00F8 07EFF11F
	v_cndmask_b32_e64 v29, v248, v250, s[78:79]                // 00000000A4F8: D100001D 013BF5F8
	v_and_or_b32 v91, v29, v249, v28                           // 00000000A500: D201005B 0473F31D
	v_accvgpr_read_b32 v30, a248                               // 00000000A508: D3D8401E 180001F8
	v_accvgpr_read_b32 v31, a249                               // 00000000A510: D3D8401F 180001F9
	v_mul_f32_e32 v30, s48, v30                                // 00000000A518: 0A3C3C30
	v_mul_f32_e32 v31, s48, v31                                // 00000000A51C: 0A3E3E30
	v_cmp_u_f32_e64 s[78:79], v30, v30                         // 00000000A520: D048004E 00023D1E
	v_bfe_u32 v248, v30, 16, 1                                 // 00000000A528: D1C800F8 0205211E
	v_add3_u32 v248, v30, v248, v251                           // 00000000A530: D1FF00F8 07EFF11E
	v_cndmask_b32_e64 v28, v248, v250, s[78:79]                // 00000000A538: D100001C 013BF5F8
	v_lshrrev_b32_e32 v28, 16, v28                             // 00000000A540: 20383890
	v_cmp_u_f32_e64 s[78:79], v31, v31                         // 00000000A544: D048004E 00023F1F
	v_bfe_u32 v248, v31, 16, 1                                 // 00000000A54C: D1C800F8 0205211F
	v_add3_u32 v248, v31, v248, v251                           // 00000000A554: D1FF00F8 07EFF11F
	v_cndmask_b32_e64 v29, v248, v250, s[78:79]                // 00000000A55C: D100001D 013BF5F8
	v_and_or_b32 v92, v29, v249, v28                           // 00000000A564: D201005C 0473F31D
	v_accvgpr_read_b32 v30, a250                               // 00000000A56C: D3D8401E 180001FA
	v_accvgpr_read_b32 v31, a251                               // 00000000A574: D3D8401F 180001FB
	v_mul_f32_e32 v30, s48, v30                                // 00000000A57C: 0A3C3C30
	v_mul_f32_e32 v31, s48, v31                                // 00000000A580: 0A3E3E30
	v_cmp_u_f32_e64 s[78:79], v30, v30                         // 00000000A584: D048004E 00023D1E
	v_bfe_u32 v248, v30, 16, 1                                 // 00000000A58C: D1C800F8 0205211E
	v_add3_u32 v248, v30, v248, v251                           // 00000000A594: D1FF00F8 07EFF11E
	v_cndmask_b32_e64 v28, v248, v250, s[78:79]                // 00000000A59C: D100001C 013BF5F8
	v_lshrrev_b32_e32 v28, 16, v28                             // 00000000A5A4: 20383890
	v_cmp_u_f32_e64 s[78:79], v31, v31                         // 00000000A5A8: D048004E 00023F1F
	v_bfe_u32 v248, v31, 16, 1                                 // 00000000A5B0: D1C800F8 0205211F
	v_add3_u32 v248, v31, v248, v251                           // 00000000A5B8: D1FF00F8 07EFF11F
	v_cndmask_b32_e64 v29, v248, v250, s[78:79]                // 00000000A5C0: D100001D 013BF5F8
	v_and_or_b32 v93, v29, v249, v28                           // 00000000A5C8: D201005D 0473F31D
	v_accvgpr_read_b32 v30, a252                               // 00000000A5D0: D3D8401E 180001FC
	v_accvgpr_read_b32 v31, a253                               // 00000000A5D8: D3D8401F 180001FD
	v_mul_f32_e32 v30, s48, v30                                // 00000000A5E0: 0A3C3C30
	v_mul_f32_e32 v31, s48, v31                                // 00000000A5E4: 0A3E3E30
	v_cmp_u_f32_e64 s[78:79], v30, v30                         // 00000000A5E8: D048004E 00023D1E
	v_bfe_u32 v248, v30, 16, 1                                 // 00000000A5F0: D1C800F8 0205211E
	v_add3_u32 v248, v30, v248, v251                           // 00000000A5F8: D1FF00F8 07EFF11E
	v_cndmask_b32_e64 v28, v248, v250, s[78:79]                // 00000000A600: D100001C 013BF5F8
	v_lshrrev_b32_e32 v28, 16, v28                             // 00000000A608: 20383890
	v_cmp_u_f32_e64 s[78:79], v31, v31                         // 00000000A60C: D048004E 00023F1F
	v_bfe_u32 v248, v31, 16, 1                                 // 00000000A614: D1C800F8 0205211F
	v_add3_u32 v248, v31, v248, v251                           // 00000000A61C: D1FF00F8 07EFF11F
	v_cndmask_b32_e64 v29, v248, v250, s[78:79]                // 00000000A624: D100001D 013BF5F8
	v_and_or_b32 v94, v29, v249, v28                           // 00000000A62C: D201005E 0473F31D
	v_accvgpr_read_b32 v30, a254                               // 00000000A634: D3D8401E 180001FE
	v_accvgpr_read_b32 v31, a255                               // 00000000A63C: D3D8401F 180001FF
	v_mul_f32_e32 v30, s48, v30                                // 00000000A644: 0A3C3C30
	v_mul_f32_e32 v31, s48, v31                                // 00000000A648: 0A3E3E30
	v_cmp_u_f32_e64 s[78:79], v30, v30                         // 00000000A64C: D048004E 00023D1E
	v_bfe_u32 v248, v30, 16, 1                                 // 00000000A654: D1C800F8 0205211E
	v_add3_u32 v248, v30, v248, v251                           // 00000000A65C: D1FF00F8 07EFF11E
	v_cndmask_b32_e64 v28, v248, v250, s[78:79]                // 00000000A664: D100001C 013BF5F8
	v_lshrrev_b32_e32 v28, 16, v28                             // 00000000A66C: 20383890
	v_cmp_u_f32_e64 s[78:79], v31, v31                         // 00000000A670: D048004E 00023F1F
	v_bfe_u32 v248, v31, 16, 1                                 // 00000000A678: D1C800F8 0205211F
	v_add3_u32 v248, v31, v248, v251                           // 00000000A680: D1FF00F8 07EFF11F
	v_cndmask_b32_e64 v29, v248, v250, s[78:79]                // 00000000A688: D100001D 013BF5F8
	v_and_or_b32 v95, v29, v249, v28                           // 00000000A690: D201005F 0473F31D
	ds_write_b64 v25, v[80:81] offset:33792                    // 00000000A698: D89A8400 00005019
	ds_write_b64 v25, v[82:83] offset:34320                    // 00000000A6A0: D89A8610 00005219
	ds_write_b64 v25, v[84:85] offset:34848                    // 00000000A6A8: D89A8820 00005419
	ds_write_b64 v25, v[86:87] offset:35376                    // 00000000A6B0: D89A8A30 00005619
	ds_write_b64 v25, v[88:89] offset:35904                    // 00000000A6B8: D89A8C40 00005819
	ds_write_b64 v25, v[90:91] offset:36432                    // 00000000A6C0: D89A8E50 00005A19
	ds_write_b64 v25, v[92:93] offset:36960                    // 00000000A6C8: D89A9060 00005C19
	ds_write_b64 v25, v[94:95] offset:37488                    // 00000000A6D0: D89A9270 00005E19
	s_waitcnt lgkmcnt(0)                                       // 00000000A6D8: BF8CC07F
	s_barrier                                                  // 00000000A6DC: BF8A0000
	ds_read_b64 v[80:81], v24 offset:33792                     // 00000000A6E0: D8EC8400 50000018
	ds_read_b64 v[82:83], v24 offset:33920                     // 00000000A6E8: D8EC8480 52000018
	ds_read_b64 v[84:85], v24 offset:33824                     // 00000000A6F0: D8EC8420 54000018
	ds_read_b64 v[86:87], v24 offset:33952                     // 00000000A6F8: D8EC84A0 56000018
	ds_read_b64 v[88:89], v24 offset:33856                     // 00000000A700: D8EC8440 58000018
	ds_read_b64 v[90:91], v24 offset:33984                     // 00000000A708: D8EC84C0 5A000018
	ds_read_b64 v[92:93], v24 offset:33888                     // 00000000A710: D8EC8460 5C000018
	ds_read_b64 v[94:95], v24 offset:34016                     // 00000000A718: D8EC84E0 5E000018
	s_waitcnt lgkmcnt(0)                                       // 00000000A720: BF8CC07F
	buffer_store_dwordx4 v[80:83], v5, s[36:39], 0 idxen       // 00000000A724: E07C2000 80095005
	v_add_u32_e32 v5, s46, v5                                  // 00000000A72C: 680A0A2E
	buffer_store_dwordx4 v[84:87], v5, s[36:39], 0 idxen       // 00000000A730: E07C2000 80095405
	v_add_u32_e32 v5, s46, v5                                  // 00000000A738: 680A0A2E
	buffer_store_dwordx4 v[88:91], v5, s[36:39], 0 idxen       // 00000000A73C: E07C2000 80095805
	v_add_u32_e32 v5, s46, v5                                  // 00000000A744: 680A0A2E
	buffer_store_dwordx4 v[92:95], v5, s[36:39], 0 idxen       // 00000000A748: E07C2000 80095C05
	v_add_u32_e32 v5, s46, v5                                  // 00000000A750: 680A0A2E
	s_mul_i32 s60, 12, s46                                     // 00000000A754: 923C2E8C
	v_add_u32_e32 v5, s60, v5                                  // 00000000A758: 680A0A3C
	s_barrier                                                  // 00000000A75C: BF8A0000
	s_cmp_ge_i32 3, s72                                        // 00000000A760: BF034883
	s_cbranch_scc1 label_1A5A                                  // 00000000A764: BF850000

000000000000a768 <label_1A5A>:
	v_mov_b32_e32 v30, v152                                    // 00000000A768: 7E3C0398
	v_mov_b32_e32 v31, v153                                    // 00000000A76C: 7E3E0399
	v_cmp_u_f32_e64 s[78:79], v30, v30                         // 00000000A770: D048004E 00023D1E
	v_bfe_u32 v248, v30, 16, 1                                 // 00000000A778: D1C800F8 0205211E
	v_add3_u32 v248, v30, v248, v251                           // 00000000A780: D1FF00F8 07EFF11E
	v_cndmask_b32_e64 v28, v248, v250, s[78:79]                // 00000000A788: D100001C 013BF5F8
	v_lshrrev_b32_e32 v28, 16, v28                             // 00000000A790: 20383890
	v_cmp_u_f32_e64 s[78:79], v31, v31                         // 00000000A794: D048004E 00023F1F
	v_bfe_u32 v248, v31, 16, 1                                 // 00000000A79C: D1C800F8 0205211F
	v_add3_u32 v248, v31, v248, v251                           // 00000000A7A4: D1FF00F8 07EFF11F
	v_cndmask_b32_e64 v29, v248, v250, s[78:79]                // 00000000A7AC: D100001D 013BF5F8
	v_and_or_b32 v152, v29, v249, v28                          // 00000000A7B4: D2010098 0473F31D
	v_mov_b32_e32 v30, v154                                    // 00000000A7BC: 7E3C039A
	v_mov_b32_e32 v31, v155                                    // 00000000A7C0: 7E3E039B
	v_cmp_u_f32_e64 s[78:79], v30, v30                         // 00000000A7C4: D048004E 00023D1E
	v_bfe_u32 v248, v30, 16, 1                                 // 00000000A7CC: D1C800F8 0205211E
	v_add3_u32 v248, v30, v248, v251                           // 00000000A7D4: D1FF00F8 07EFF11E
	v_cndmask_b32_e64 v28, v248, v250, s[78:79]                // 00000000A7DC: D100001C 013BF5F8
	v_lshrrev_b32_e32 v28, 16, v28                             // 00000000A7E4: 20383890
	v_cmp_u_f32_e64 s[78:79], v31, v31                         // 00000000A7E8: D048004E 00023F1F
	v_bfe_u32 v248, v31, 16, 1                                 // 00000000A7F0: D1C800F8 0205211F
	v_add3_u32 v248, v31, v248, v251                           // 00000000A7F8: D1FF00F8 07EFF11F
	v_cndmask_b32_e64 v29, v248, v250, s[78:79]                // 00000000A800: D100001D 013BF5F8
	v_and_or_b32 v153, v29, v249, v28                          // 00000000A808: D2010099 0473F31D
	v_mov_b32_e32 v30, v156                                    // 00000000A810: 7E3C039C
	v_mov_b32_e32 v31, v157                                    // 00000000A814: 7E3E039D
	v_cmp_u_f32_e64 s[78:79], v30, v30                         // 00000000A818: D048004E 00023D1E
	v_bfe_u32 v248, v30, 16, 1                                 // 00000000A820: D1C800F8 0205211E
	v_add3_u32 v248, v30, v248, v251                           // 00000000A828: D1FF00F8 07EFF11E
	v_cndmask_b32_e64 v28, v248, v250, s[78:79]                // 00000000A830: D100001C 013BF5F8
	v_lshrrev_b32_e32 v28, 16, v28                             // 00000000A838: 20383890
	v_cmp_u_f32_e64 s[78:79], v31, v31                         // 00000000A83C: D048004E 00023F1F
	v_bfe_u32 v248, v31, 16, 1                                 // 00000000A844: D1C800F8 0205211F
	v_add3_u32 v248, v31, v248, v251                           // 00000000A84C: D1FF00F8 07EFF11F
	v_cndmask_b32_e64 v29, v248, v250, s[78:79]                // 00000000A854: D100001D 013BF5F8
	v_and_or_b32 v154, v29, v249, v28                          // 00000000A85C: D201009A 0473F31D
	v_mov_b32_e32 v30, v158                                    // 00000000A864: 7E3C039E
	v_mov_b32_e32 v31, v159                                    // 00000000A868: 7E3E039F
	v_cmp_u_f32_e64 s[78:79], v30, v30                         // 00000000A86C: D048004E 00023D1E
	v_bfe_u32 v248, v30, 16, 1                                 // 00000000A874: D1C800F8 0205211E
	v_add3_u32 v248, v30, v248, v251                           // 00000000A87C: D1FF00F8 07EFF11E
	v_cndmask_b32_e64 v28, v248, v250, s[78:79]                // 00000000A884: D100001C 013BF5F8
	v_lshrrev_b32_e32 v28, 16, v28                             // 00000000A88C: 20383890
	v_cmp_u_f32_e64 s[78:79], v31, v31                         // 00000000A890: D048004E 00023F1F
	v_bfe_u32 v248, v31, 16, 1                                 // 00000000A898: D1C800F8 0205211F
	v_add3_u32 v248, v31, v248, v251                           // 00000000A8A0: D1FF00F8 07EFF11F
	v_cndmask_b32_e64 v29, v248, v250, s[78:79]                // 00000000A8A8: D100001D 013BF5F8
	v_and_or_b32 v155, v29, v249, v28                          // 00000000A8B0: D201009B 0473F31D
	v_mov_b32_e32 v30, v160                                    // 00000000A8B8: 7E3C03A0
	v_mov_b32_e32 v31, v161                                    // 00000000A8BC: 7E3E03A1
	v_cmp_u_f32_e64 s[78:79], v30, v30                         // 00000000A8C0: D048004E 00023D1E
	v_bfe_u32 v248, v30, 16, 1                                 // 00000000A8C8: D1C800F8 0205211E
	v_add3_u32 v248, v30, v248, v251                           // 00000000A8D0: D1FF00F8 07EFF11E
	v_cndmask_b32_e64 v28, v248, v250, s[78:79]                // 00000000A8D8: D100001C 013BF5F8
	v_lshrrev_b32_e32 v28, 16, v28                             // 00000000A8E0: 20383890
	v_cmp_u_f32_e64 s[78:79], v31, v31                         // 00000000A8E4: D048004E 00023F1F
	v_bfe_u32 v248, v31, 16, 1                                 // 00000000A8EC: D1C800F8 0205211F
	v_add3_u32 v248, v31, v248, v251                           // 00000000A8F4: D1FF00F8 07EFF11F
	v_cndmask_b32_e64 v29, v248, v250, s[78:79]                // 00000000A8FC: D100001D 013BF5F8
	v_and_or_b32 v156, v29, v249, v28                          // 00000000A904: D201009C 0473F31D
	v_mov_b32_e32 v30, v162                                    // 00000000A90C: 7E3C03A2
	v_mov_b32_e32 v31, v163                                    // 00000000A910: 7E3E03A3
	v_cmp_u_f32_e64 s[78:79], v30, v30                         // 00000000A914: D048004E 00023D1E
	v_bfe_u32 v248, v30, 16, 1                                 // 00000000A91C: D1C800F8 0205211E
	v_add3_u32 v248, v30, v248, v251                           // 00000000A924: D1FF00F8 07EFF11E
	v_cndmask_b32_e64 v28, v248, v250, s[78:79]                // 00000000A92C: D100001C 013BF5F8
	v_lshrrev_b32_e32 v28, 16, v28                             // 00000000A934: 20383890
	v_cmp_u_f32_e64 s[78:79], v31, v31                         // 00000000A938: D048004E 00023F1F
	v_bfe_u32 v248, v31, 16, 1                                 // 00000000A940: D1C800F8 0205211F
	v_add3_u32 v248, v31, v248, v251                           // 00000000A948: D1FF00F8 07EFF11F
	v_cndmask_b32_e64 v29, v248, v250, s[78:79]                // 00000000A950: D100001D 013BF5F8
	v_and_or_b32 v157, v29, v249, v28                          // 00000000A958: D201009D 0473F31D
	v_mov_b32_e32 v30, v164                                    // 00000000A960: 7E3C03A4
	v_mov_b32_e32 v31, v165                                    // 00000000A964: 7E3E03A5
	v_cmp_u_f32_e64 s[78:79], v30, v30                         // 00000000A968: D048004E 00023D1E
	v_bfe_u32 v248, v30, 16, 1                                 // 00000000A970: D1C800F8 0205211E
	v_add3_u32 v248, v30, v248, v251                           // 00000000A978: D1FF00F8 07EFF11E
	v_cndmask_b32_e64 v28, v248, v250, s[78:79]                // 00000000A980: D100001C 013BF5F8
	v_lshrrev_b32_e32 v28, 16, v28                             // 00000000A988: 20383890
	v_cmp_u_f32_e64 s[78:79], v31, v31                         // 00000000A98C: D048004E 00023F1F
	v_bfe_u32 v248, v31, 16, 1                                 // 00000000A994: D1C800F8 0205211F
	v_add3_u32 v248, v31, v248, v251                           // 00000000A99C: D1FF00F8 07EFF11F
	v_cndmask_b32_e64 v29, v248, v250, s[78:79]                // 00000000A9A4: D100001D 013BF5F8
	v_and_or_b32 v158, v29, v249, v28                          // 00000000A9AC: D201009E 0473F31D
	v_mov_b32_e32 v30, v166                                    // 00000000A9B4: 7E3C03A6
	v_mov_b32_e32 v31, v167                                    // 00000000A9B8: 7E3E03A7
	v_cmp_u_f32_e64 s[78:79], v30, v30                         // 00000000A9BC: D048004E 00023D1E
	v_bfe_u32 v248, v30, 16, 1                                 // 00000000A9C4: D1C800F8 0205211E
	v_add3_u32 v248, v30, v248, v251                           // 00000000A9CC: D1FF00F8 07EFF11E
	v_cndmask_b32_e64 v28, v248, v250, s[78:79]                // 00000000A9D4: D100001C 013BF5F8
	v_lshrrev_b32_e32 v28, 16, v28                             // 00000000A9DC: 20383890
	v_cmp_u_f32_e64 s[78:79], v31, v31                         // 00000000A9E0: D048004E 00023F1F
	v_bfe_u32 v248, v31, 16, 1                                 // 00000000A9E8: D1C800F8 0205211F
	v_add3_u32 v248, v31, v248, v251                           // 00000000A9F0: D1FF00F8 07EFF11F
	v_cndmask_b32_e64 v29, v248, v250, s[78:79]                // 00000000A9F8: D100001D 013BF5F8
	v_and_or_b32 v159, v29, v249, v28                          // 00000000AA00: D201009F 0473F31D
	v_mov_b32_e32 v30, v168                                    // 00000000AA08: 7E3C03A8
	v_mov_b32_e32 v31, v169                                    // 00000000AA0C: 7E3E03A9
	v_cmp_u_f32_e64 s[78:79], v30, v30                         // 00000000AA10: D048004E 00023D1E
	v_bfe_u32 v248, v30, 16, 1                                 // 00000000AA18: D1C800F8 0205211E
	v_add3_u32 v248, v30, v248, v251                           // 00000000AA20: D1FF00F8 07EFF11E
	v_cndmask_b32_e64 v28, v248, v250, s[78:79]                // 00000000AA28: D100001C 013BF5F8
	v_lshrrev_b32_e32 v28, 16, v28                             // 00000000AA30: 20383890
	v_cmp_u_f32_e64 s[78:79], v31, v31                         // 00000000AA34: D048004E 00023F1F
	v_bfe_u32 v248, v31, 16, 1                                 // 00000000AA3C: D1C800F8 0205211F
	v_add3_u32 v248, v31, v248, v251                           // 00000000AA44: D1FF00F8 07EFF11F
	v_cndmask_b32_e64 v29, v248, v250, s[78:79]                // 00000000AA4C: D100001D 013BF5F8
	v_and_or_b32 v160, v29, v249, v28                          // 00000000AA54: D20100A0 0473F31D
	v_mov_b32_e32 v30, v170                                    // 00000000AA5C: 7E3C03AA
	v_mov_b32_e32 v31, v171                                    // 00000000AA60: 7E3E03AB
	v_cmp_u_f32_e64 s[78:79], v30, v30                         // 00000000AA64: D048004E 00023D1E
	v_bfe_u32 v248, v30, 16, 1                                 // 00000000AA6C: D1C800F8 0205211E
	v_add3_u32 v248, v30, v248, v251                           // 00000000AA74: D1FF00F8 07EFF11E
	v_cndmask_b32_e64 v28, v248, v250, s[78:79]                // 00000000AA7C: D100001C 013BF5F8
	v_lshrrev_b32_e32 v28, 16, v28                             // 00000000AA84: 20383890
	v_cmp_u_f32_e64 s[78:79], v31, v31                         // 00000000AA88: D048004E 00023F1F
	v_bfe_u32 v248, v31, 16, 1                                 // 00000000AA90: D1C800F8 0205211F
	v_add3_u32 v248, v31, v248, v251                           // 00000000AA98: D1FF00F8 07EFF11F
	v_cndmask_b32_e64 v29, v248, v250, s[78:79]                // 00000000AAA0: D100001D 013BF5F8
	v_and_or_b32 v161, v29, v249, v28                          // 00000000AAA8: D20100A1 0473F31D
	v_mov_b32_e32 v30, v172                                    // 00000000AAB0: 7E3C03AC
	v_mov_b32_e32 v31, v173                                    // 00000000AAB4: 7E3E03AD
	v_cmp_u_f32_e64 s[78:79], v30, v30                         // 00000000AAB8: D048004E 00023D1E
	v_bfe_u32 v248, v30, 16, 1                                 // 00000000AAC0: D1C800F8 0205211E
	v_add3_u32 v248, v30, v248, v251                           // 00000000AAC8: D1FF00F8 07EFF11E
	v_cndmask_b32_e64 v28, v248, v250, s[78:79]                // 00000000AAD0: D100001C 013BF5F8
	v_lshrrev_b32_e32 v28, 16, v28                             // 00000000AAD8: 20383890
	v_cmp_u_f32_e64 s[78:79], v31, v31                         // 00000000AADC: D048004E 00023F1F
	v_bfe_u32 v248, v31, 16, 1                                 // 00000000AAE4: D1C800F8 0205211F
	v_add3_u32 v248, v31, v248, v251                           // 00000000AAEC: D1FF00F8 07EFF11F
	v_cndmask_b32_e64 v29, v248, v250, s[78:79]                // 00000000AAF4: D100001D 013BF5F8
	v_and_or_b32 v162, v29, v249, v28                          // 00000000AAFC: D20100A2 0473F31D
	v_mov_b32_e32 v30, v174                                    // 00000000AB04: 7E3C03AE
	v_mov_b32_e32 v31, v175                                    // 00000000AB08: 7E3E03AF
	v_cmp_u_f32_e64 s[78:79], v30, v30                         // 00000000AB0C: D048004E 00023D1E
	v_bfe_u32 v248, v30, 16, 1                                 // 00000000AB14: D1C800F8 0205211E
	v_add3_u32 v248, v30, v248, v251                           // 00000000AB1C: D1FF00F8 07EFF11E
	v_cndmask_b32_e64 v28, v248, v250, s[78:79]                // 00000000AB24: D100001C 013BF5F8
	v_lshrrev_b32_e32 v28, 16, v28                             // 00000000AB2C: 20383890
	v_cmp_u_f32_e64 s[78:79], v31, v31                         // 00000000AB30: D048004E 00023F1F
	v_bfe_u32 v248, v31, 16, 1                                 // 00000000AB38: D1C800F8 0205211F
	v_add3_u32 v248, v31, v248, v251                           // 00000000AB40: D1FF00F8 07EFF11F
	v_cndmask_b32_e64 v29, v248, v250, s[78:79]                // 00000000AB48: D100001D 013BF5F8
	v_and_or_b32 v163, v29, v249, v28                          // 00000000AB50: D20100A3 0473F31D
	v_mov_b32_e32 v30, v176                                    // 00000000AB58: 7E3C03B0
	v_mov_b32_e32 v31, v177                                    // 00000000AB5C: 7E3E03B1
	v_cmp_u_f32_e64 s[78:79], v30, v30                         // 00000000AB60: D048004E 00023D1E
	v_bfe_u32 v248, v30, 16, 1                                 // 00000000AB68: D1C800F8 0205211E
	v_add3_u32 v248, v30, v248, v251                           // 00000000AB70: D1FF00F8 07EFF11E
	v_cndmask_b32_e64 v28, v248, v250, s[78:79]                // 00000000AB78: D100001C 013BF5F8
	v_lshrrev_b32_e32 v28, 16, v28                             // 00000000AB80: 20383890
	v_cmp_u_f32_e64 s[78:79], v31, v31                         // 00000000AB84: D048004E 00023F1F
	v_bfe_u32 v248, v31, 16, 1                                 // 00000000AB8C: D1C800F8 0205211F
	v_add3_u32 v248, v31, v248, v251                           // 00000000AB94: D1FF00F8 07EFF11F
	v_cndmask_b32_e64 v29, v248, v250, s[78:79]                // 00000000AB9C: D100001D 013BF5F8
	v_and_or_b32 v164, v29, v249, v28                          // 00000000ABA4: D20100A4 0473F31D
	v_mov_b32_e32 v30, v178                                    // 00000000ABAC: 7E3C03B2
	v_mov_b32_e32 v31, v179                                    // 00000000ABB0: 7E3E03B3
	v_cmp_u_f32_e64 s[78:79], v30, v30                         // 00000000ABB4: D048004E 00023D1E
	v_bfe_u32 v248, v30, 16, 1                                 // 00000000ABBC: D1C800F8 0205211E
	v_add3_u32 v248, v30, v248, v251                           // 00000000ABC4: D1FF00F8 07EFF11E
	v_cndmask_b32_e64 v28, v248, v250, s[78:79]                // 00000000ABCC: D100001C 013BF5F8
	v_lshrrev_b32_e32 v28, 16, v28                             // 00000000ABD4: 20383890
	v_cmp_u_f32_e64 s[78:79], v31, v31                         // 00000000ABD8: D048004E 00023F1F
	v_bfe_u32 v248, v31, 16, 1                                 // 00000000ABE0: D1C800F8 0205211F
	v_add3_u32 v248, v31, v248, v251                           // 00000000ABE8: D1FF00F8 07EFF11F
	v_cndmask_b32_e64 v29, v248, v250, s[78:79]                // 00000000ABF0: D100001D 013BF5F8
	v_and_or_b32 v165, v29, v249, v28                          // 00000000ABF8: D20100A5 0473F31D
	v_mov_b32_e32 v30, v180                                    // 00000000AC00: 7E3C03B4
	v_mov_b32_e32 v31, v181                                    // 00000000AC04: 7E3E03B5
	v_cmp_u_f32_e64 s[78:79], v30, v30                         // 00000000AC08: D048004E 00023D1E
	v_bfe_u32 v248, v30, 16, 1                                 // 00000000AC10: D1C800F8 0205211E
	v_add3_u32 v248, v30, v248, v251                           // 00000000AC18: D1FF00F8 07EFF11E
	v_cndmask_b32_e64 v28, v248, v250, s[78:79]                // 00000000AC20: D100001C 013BF5F8
	v_lshrrev_b32_e32 v28, 16, v28                             // 00000000AC28: 20383890
	v_cmp_u_f32_e64 s[78:79], v31, v31                         // 00000000AC2C: D048004E 00023F1F
	v_bfe_u32 v248, v31, 16, 1                                 // 00000000AC34: D1C800F8 0205211F
	v_add3_u32 v248, v31, v248, v251                           // 00000000AC3C: D1FF00F8 07EFF11F
	v_cndmask_b32_e64 v29, v248, v250, s[78:79]                // 00000000AC44: D100001D 013BF5F8
	v_and_or_b32 v166, v29, v249, v28                          // 00000000AC4C: D20100A6 0473F31D
	v_mov_b32_e32 v30, v182                                    // 00000000AC54: 7E3C03B6
	v_mov_b32_e32 v31, v183                                    // 00000000AC58: 7E3E03B7
	v_cmp_u_f32_e64 s[78:79], v30, v30                         // 00000000AC5C: D048004E 00023D1E
	v_bfe_u32 v248, v30, 16, 1                                 // 00000000AC64: D1C800F8 0205211E
	v_add3_u32 v248, v30, v248, v251                           // 00000000AC6C: D1FF00F8 07EFF11E
	v_cndmask_b32_e64 v28, v248, v250, s[78:79]                // 00000000AC74: D100001C 013BF5F8
	v_lshrrev_b32_e32 v28, 16, v28                             // 00000000AC7C: 20383890
	v_cmp_u_f32_e64 s[78:79], v31, v31                         // 00000000AC80: D048004E 00023F1F
	v_bfe_u32 v248, v31, 16, 1                                 // 00000000AC88: D1C800F8 0205211F
	v_add3_u32 v248, v31, v248, v251                           // 00000000AC90: D1FF00F8 07EFF11F
	v_cndmask_b32_e64 v29, v248, v250, s[78:79]                // 00000000AC98: D100001D 013BF5F8
	v_and_or_b32 v167, v29, v249, v28                          // 00000000ACA0: D20100A7 0473F31D
	ds_write_b64 v25, v[152:153]                               // 00000000ACA8: D89A0000 00009819
	ds_write_b64 v25, v[154:155] offset:528                    // 00000000ACB0: D89A0210 00009A19
	ds_write_b64 v25, v[156:157] offset:1056                   // 00000000ACB8: D89A0420 00009C19
	ds_write_b64 v25, v[158:159] offset:1584                   // 00000000ACC0: D89A0630 00009E19
	ds_write_b64 v25, v[160:161] offset:2112                   // 00000000ACC8: D89A0840 0000A019
	ds_write_b64 v25, v[162:163] offset:2640                   // 00000000ACD0: D89A0A50 0000A219
	ds_write_b64 v25, v[164:165] offset:3168                   // 00000000ACD8: D89A0C60 0000A419
	ds_write_b64 v25, v[166:167] offset:3696                   // 00000000ACE0: D89A0E70 0000A619
	s_waitcnt lgkmcnt(0)                                       // 00000000ACE8: BF8CC07F
	s_barrier                                                  // 00000000ACEC: BF8A0000
	ds_read_b64 v[152:153], v24                                // 00000000ACF0: D8EC0000 98000018
	ds_read_b64 v[154:155], v24 offset:128                     // 00000000ACF8: D8EC0080 9A000018
	ds_read_b64 v[156:157], v24 offset:32                      // 00000000AD00: D8EC0020 9C000018
	ds_read_b64 v[158:159], v24 offset:160                     // 00000000AD08: D8EC00A0 9E000018
	ds_read_b64 v[160:161], v24 offset:64                      // 00000000AD10: D8EC0040 A0000018
	ds_read_b64 v[162:163], v24 offset:192                     // 00000000AD18: D8EC00C0 A2000018
	ds_read_b64 v[164:165], v24 offset:96                      // 00000000AD20: D8EC0060 A4000018
	ds_read_b64 v[166:167], v24 offset:224                     // 00000000AD28: D8EC00E0 A6000018
	s_waitcnt lgkmcnt(0)                                       // 00000000AD30: BF8CC07F
	buffer_store_dwordx4 v[152:155], v6, s[40:43], 0 idxen     // 00000000AD34: E07C2000 800A9806
	v_add_u32_e32 v6, s46, v6                                  // 00000000AD3C: 680C0C2E
	buffer_store_dwordx4 v[156:159], v6, s[40:43], 0 idxen     // 00000000AD40: E07C2000 800A9C06
	v_add_u32_e32 v6, s46, v6                                  // 00000000AD48: 680C0C2E
	buffer_store_dwordx4 v[160:163], v6, s[40:43], 0 idxen     // 00000000AD4C: E07C2000 800AA006
	v_add_u32_e32 v6, s46, v6                                  // 00000000AD54: 680C0C2E
	buffer_store_dwordx4 v[164:167], v6, s[40:43], 0 idxen     // 00000000AD58: E07C2000 800AA406
	v_add_u32_e32 v6, s46, v6                                  // 00000000AD60: 680C0C2E
	s_mul_i32 s60, 12, s46                                     // 00000000AD64: 923C2E8C
	v_add_u32_e32 v6, s60, v6                                  // 00000000AD68: 680C0C3C
	s_cmp_ge_i32 1, s72                                        // 00000000AD6C: BF034881
	s_cbranch_scc1 label_1EE3                                  // 00000000AD70: BF850306
	v_mov_b32_e32 v30, v184                                    // 00000000AD74: 7E3C03B8
	v_mov_b32_e32 v31, v185                                    // 00000000AD78: 7E3E03B9
	v_cmp_u_f32_e64 s[78:79], v30, v30                         // 00000000AD7C: D048004E 00023D1E
	v_bfe_u32 v248, v30, 16, 1                                 // 00000000AD84: D1C800F8 0205211E
	v_add3_u32 v248, v30, v248, v251                           // 00000000AD8C: D1FF00F8 07EFF11E
	v_cndmask_b32_e64 v28, v248, v250, s[78:79]                // 00000000AD94: D100001C 013BF5F8
	v_lshrrev_b32_e32 v28, 16, v28                             // 00000000AD9C: 20383890
	v_cmp_u_f32_e64 s[78:79], v31, v31                         // 00000000ADA0: D048004E 00023F1F
	v_bfe_u32 v248, v31, 16, 1                                 // 00000000ADA8: D1C800F8 0205211F
	v_add3_u32 v248, v31, v248, v251                           // 00000000ADB0: D1FF00F8 07EFF11F
	v_cndmask_b32_e64 v29, v248, v250, s[78:79]                // 00000000ADB8: D100001D 013BF5F8
	v_and_or_b32 v168, v29, v249, v28                          // 00000000ADC0: D20100A8 0473F31D
	v_mov_b32_e32 v30, v186                                    // 00000000ADC8: 7E3C03BA
	v_mov_b32_e32 v31, v187                                    // 00000000ADCC: 7E3E03BB
	v_cmp_u_f32_e64 s[78:79], v30, v30                         // 00000000ADD0: D048004E 00023D1E
	v_bfe_u32 v248, v30, 16, 1                                 // 00000000ADD8: D1C800F8 0205211E
	v_add3_u32 v248, v30, v248, v251                           // 00000000ADE0: D1FF00F8 07EFF11E
	v_cndmask_b32_e64 v28, v248, v250, s[78:79]                // 00000000ADE8: D100001C 013BF5F8
	v_lshrrev_b32_e32 v28, 16, v28                             // 00000000ADF0: 20383890
	v_cmp_u_f32_e64 s[78:79], v31, v31                         // 00000000ADF4: D048004E 00023F1F
	v_bfe_u32 v248, v31, 16, 1                                 // 00000000ADFC: D1C800F8 0205211F
	v_add3_u32 v248, v31, v248, v251                           // 00000000AE04: D1FF00F8 07EFF11F
	v_cndmask_b32_e64 v29, v248, v250, s[78:79]                // 00000000AE0C: D100001D 013BF5F8
	v_and_or_b32 v169, v29, v249, v28                          // 00000000AE14: D20100A9 0473F31D
	v_mov_b32_e32 v30, v188                                    // 00000000AE1C: 7E3C03BC
	v_mov_b32_e32 v31, v189                                    // 00000000AE20: 7E3E03BD
	v_cmp_u_f32_e64 s[78:79], v30, v30                         // 00000000AE24: D048004E 00023D1E
	v_bfe_u32 v248, v30, 16, 1                                 // 00000000AE2C: D1C800F8 0205211E
	v_add3_u32 v248, v30, v248, v251                           // 00000000AE34: D1FF00F8 07EFF11E
	v_cndmask_b32_e64 v28, v248, v250, s[78:79]                // 00000000AE3C: D100001C 013BF5F8
	v_lshrrev_b32_e32 v28, 16, v28                             // 00000000AE44: 20383890
	v_cmp_u_f32_e64 s[78:79], v31, v31                         // 00000000AE48: D048004E 00023F1F
	v_bfe_u32 v248, v31, 16, 1                                 // 00000000AE50: D1C800F8 0205211F
	v_add3_u32 v248, v31, v248, v251                           // 00000000AE58: D1FF00F8 07EFF11F
	v_cndmask_b32_e64 v29, v248, v250, s[78:79]                // 00000000AE60: D100001D 013BF5F8
	v_and_or_b32 v170, v29, v249, v28                          // 00000000AE68: D20100AA 0473F31D
	v_mov_b32_e32 v30, v190                                    // 00000000AE70: 7E3C03BE
	v_mov_b32_e32 v31, v191                                    // 00000000AE74: 7E3E03BF
	v_cmp_u_f32_e64 s[78:79], v30, v30                         // 00000000AE78: D048004E 00023D1E
	v_bfe_u32 v248, v30, 16, 1                                 // 00000000AE80: D1C800F8 0205211E
	v_add3_u32 v248, v30, v248, v251                           // 00000000AE88: D1FF00F8 07EFF11E
	v_cndmask_b32_e64 v28, v248, v250, s[78:79]                // 00000000AE90: D100001C 013BF5F8
	v_lshrrev_b32_e32 v28, 16, v28                             // 00000000AE98: 20383890
	v_cmp_u_f32_e64 s[78:79], v31, v31                         // 00000000AE9C: D048004E 00023F1F
	v_bfe_u32 v248, v31, 16, 1                                 // 00000000AEA4: D1C800F8 0205211F
	v_add3_u32 v248, v31, v248, v251                           // 00000000AEAC: D1FF00F8 07EFF11F
	v_cndmask_b32_e64 v29, v248, v250, s[78:79]                // 00000000AEB4: D100001D 013BF5F8
	v_and_or_b32 v171, v29, v249, v28                          // 00000000AEBC: D20100AB 0473F31D
	v_mov_b32_e32 v30, v192                                    // 00000000AEC4: 7E3C03C0
	v_mov_b32_e32 v31, v193                                    // 00000000AEC8: 7E3E03C1
	v_cmp_u_f32_e64 s[78:79], v30, v30                         // 00000000AECC: D048004E 00023D1E
	v_bfe_u32 v248, v30, 16, 1                                 // 00000000AED4: D1C800F8 0205211E
	v_add3_u32 v248, v30, v248, v251                           // 00000000AEDC: D1FF00F8 07EFF11E
	v_cndmask_b32_e64 v28, v248, v250, s[78:79]                // 00000000AEE4: D100001C 013BF5F8
	v_lshrrev_b32_e32 v28, 16, v28                             // 00000000AEEC: 20383890
	v_cmp_u_f32_e64 s[78:79], v31, v31                         // 00000000AEF0: D048004E 00023F1F
	v_bfe_u32 v248, v31, 16, 1                                 // 00000000AEF8: D1C800F8 0205211F
	v_add3_u32 v248, v31, v248, v251                           // 00000000AF00: D1FF00F8 07EFF11F
	v_cndmask_b32_e64 v29, v248, v250, s[78:79]                // 00000000AF08: D100001D 013BF5F8
	v_and_or_b32 v172, v29, v249, v28                          // 00000000AF10: D20100AC 0473F31D
	v_mov_b32_e32 v30, v194                                    // 00000000AF18: 7E3C03C2
	v_mov_b32_e32 v31, v195                                    // 00000000AF1C: 7E3E03C3
	v_cmp_u_f32_e64 s[78:79], v30, v30                         // 00000000AF20: D048004E 00023D1E
	v_bfe_u32 v248, v30, 16, 1                                 // 00000000AF28: D1C800F8 0205211E
	v_add3_u32 v248, v30, v248, v251                           // 00000000AF30: D1FF00F8 07EFF11E
	v_cndmask_b32_e64 v28, v248, v250, s[78:79]                // 00000000AF38: D100001C 013BF5F8
	v_lshrrev_b32_e32 v28, 16, v28                             // 00000000AF40: 20383890
	v_cmp_u_f32_e64 s[78:79], v31, v31                         // 00000000AF44: D048004E 00023F1F
	v_bfe_u32 v248, v31, 16, 1                                 // 00000000AF4C: D1C800F8 0205211F
	v_add3_u32 v248, v31, v248, v251                           // 00000000AF54: D1FF00F8 07EFF11F
	v_cndmask_b32_e64 v29, v248, v250, s[78:79]                // 00000000AF5C: D100001D 013BF5F8
	v_and_or_b32 v173, v29, v249, v28                          // 00000000AF64: D20100AD 0473F31D
	v_mov_b32_e32 v30, v196                                    // 00000000AF6C: 7E3C03C4
	v_mov_b32_e32 v31, v197                                    // 00000000AF70: 7E3E03C5
	v_cmp_u_f32_e64 s[78:79], v30, v30                         // 00000000AF74: D048004E 00023D1E
	v_bfe_u32 v248, v30, 16, 1                                 // 00000000AF7C: D1C800F8 0205211E
	v_add3_u32 v248, v30, v248, v251                           // 00000000AF84: D1FF00F8 07EFF11E
	v_cndmask_b32_e64 v28, v248, v250, s[78:79]                // 00000000AF8C: D100001C 013BF5F8
	v_lshrrev_b32_e32 v28, 16, v28                             // 00000000AF94: 20383890
	v_cmp_u_f32_e64 s[78:79], v31, v31                         // 00000000AF98: D048004E 00023F1F
	v_bfe_u32 v248, v31, 16, 1                                 // 00000000AFA0: D1C800F8 0205211F
	v_add3_u32 v248, v31, v248, v251                           // 00000000AFA8: D1FF00F8 07EFF11F
	v_cndmask_b32_e64 v29, v248, v250, s[78:79]                // 00000000AFB0: D100001D 013BF5F8
	v_and_or_b32 v174, v29, v249, v28                          // 00000000AFB8: D20100AE 0473F31D
	v_mov_b32_e32 v30, v198                                    // 00000000AFC0: 7E3C03C6
	v_mov_b32_e32 v31, v199                                    // 00000000AFC4: 7E3E03C7
	v_cmp_u_f32_e64 s[78:79], v30, v30                         // 00000000AFC8: D048004E 00023D1E
	v_bfe_u32 v248, v30, 16, 1                                 // 00000000AFD0: D1C800F8 0205211E
	v_add3_u32 v248, v30, v248, v251                           // 00000000AFD8: D1FF00F8 07EFF11E
	v_cndmask_b32_e64 v28, v248, v250, s[78:79]                // 00000000AFE0: D100001C 013BF5F8
	v_lshrrev_b32_e32 v28, 16, v28                             // 00000000AFE8: 20383890
	v_cmp_u_f32_e64 s[78:79], v31, v31                         // 00000000AFEC: D048004E 00023F1F
	v_bfe_u32 v248, v31, 16, 1                                 // 00000000AFF4: D1C800F8 0205211F
	v_add3_u32 v248, v31, v248, v251                           // 00000000AFFC: D1FF00F8 07EFF11F
	v_cndmask_b32_e64 v29, v248, v250, s[78:79]                // 00000000B004: D100001D 013BF5F8
	v_and_or_b32 v175, v29, v249, v28                          // 00000000B00C: D20100AF 0473F31D
	v_mov_b32_e32 v30, v200                                    // 00000000B014: 7E3C03C8
	v_mov_b32_e32 v31, v201                                    // 00000000B018: 7E3E03C9
	v_cmp_u_f32_e64 s[78:79], v30, v30                         // 00000000B01C: D048004E 00023D1E
	v_bfe_u32 v248, v30, 16, 1                                 // 00000000B024: D1C800F8 0205211E
	v_add3_u32 v248, v30, v248, v251                           // 00000000B02C: D1FF00F8 07EFF11E
	v_cndmask_b32_e64 v28, v248, v250, s[78:79]                // 00000000B034: D100001C 013BF5F8
	v_lshrrev_b32_e32 v28, 16, v28                             // 00000000B03C: 20383890
	v_cmp_u_f32_e64 s[78:79], v31, v31                         // 00000000B040: D048004E 00023F1F
	v_bfe_u32 v248, v31, 16, 1                                 // 00000000B048: D1C800F8 0205211F
	v_add3_u32 v248, v31, v248, v251                           // 00000000B050: D1FF00F8 07EFF11F
	v_cndmask_b32_e64 v29, v248, v250, s[78:79]                // 00000000B058: D100001D 013BF5F8
	v_and_or_b32 v176, v29, v249, v28                          // 00000000B060: D20100B0 0473F31D
	v_mov_b32_e32 v30, v202                                    // 00000000B068: 7E3C03CA
	v_mov_b32_e32 v31, v203                                    // 00000000B06C: 7E3E03CB
	v_cmp_u_f32_e64 s[78:79], v30, v30                         // 00000000B070: D048004E 00023D1E
	v_bfe_u32 v248, v30, 16, 1                                 // 00000000B078: D1C800F8 0205211E
	v_add3_u32 v248, v30, v248, v251                           // 00000000B080: D1FF00F8 07EFF11E
	v_cndmask_b32_e64 v28, v248, v250, s[78:79]                // 00000000B088: D100001C 013BF5F8
	v_lshrrev_b32_e32 v28, 16, v28                             // 00000000B090: 20383890
	v_cmp_u_f32_e64 s[78:79], v31, v31                         // 00000000B094: D048004E 00023F1F
	v_bfe_u32 v248, v31, 16, 1                                 // 00000000B09C: D1C800F8 0205211F
	v_add3_u32 v248, v31, v248, v251                           // 00000000B0A4: D1FF00F8 07EFF11F
	v_cndmask_b32_e64 v29, v248, v250, s[78:79]                // 00000000B0AC: D100001D 013BF5F8
	v_and_or_b32 v177, v29, v249, v28                          // 00000000B0B4: D20100B1 0473F31D
	v_mov_b32_e32 v30, v204                                    // 00000000B0BC: 7E3C03CC
	v_mov_b32_e32 v31, v205                                    // 00000000B0C0: 7E3E03CD
	v_cmp_u_f32_e64 s[78:79], v30, v30                         // 00000000B0C4: D048004E 00023D1E
	v_bfe_u32 v248, v30, 16, 1                                 // 00000000B0CC: D1C800F8 0205211E
	v_add3_u32 v248, v30, v248, v251                           // 00000000B0D4: D1FF00F8 07EFF11E
	v_cndmask_b32_e64 v28, v248, v250, s[78:79]                // 00000000B0DC: D100001C 013BF5F8
	v_lshrrev_b32_e32 v28, 16, v28                             // 00000000B0E4: 20383890
	v_cmp_u_f32_e64 s[78:79], v31, v31                         // 00000000B0E8: D048004E 00023F1F
	v_bfe_u32 v248, v31, 16, 1                                 // 00000000B0F0: D1C800F8 0205211F
	v_add3_u32 v248, v31, v248, v251                           // 00000000B0F8: D1FF00F8 07EFF11F
	v_cndmask_b32_e64 v29, v248, v250, s[78:79]                // 00000000B100: D100001D 013BF5F8
	v_and_or_b32 v178, v29, v249, v28                          // 00000000B108: D20100B2 0473F31D
	v_mov_b32_e32 v30, v206                                    // 00000000B110: 7E3C03CE
	v_mov_b32_e32 v31, v207                                    // 00000000B114: 7E3E03CF
	v_cmp_u_f32_e64 s[78:79], v30, v30                         // 00000000B118: D048004E 00023D1E
	v_bfe_u32 v248, v30, 16, 1                                 // 00000000B120: D1C800F8 0205211E
	v_add3_u32 v248, v30, v248, v251                           // 00000000B128: D1FF00F8 07EFF11E
	v_cndmask_b32_e64 v28, v248, v250, s[78:79]                // 00000000B130: D100001C 013BF5F8
	v_lshrrev_b32_e32 v28, 16, v28                             // 00000000B138: 20383890
	v_cmp_u_f32_e64 s[78:79], v31, v31                         // 00000000B13C: D048004E 00023F1F
	v_bfe_u32 v248, v31, 16, 1                                 // 00000000B144: D1C800F8 0205211F
	v_add3_u32 v248, v31, v248, v251                           // 00000000B14C: D1FF00F8 07EFF11F
	v_cndmask_b32_e64 v29, v248, v250, s[78:79]                // 00000000B154: D100001D 013BF5F8
	v_and_or_b32 v179, v29, v249, v28                          // 00000000B15C: D20100B3 0473F31D
	v_mov_b32_e32 v30, v208                                    // 00000000B164: 7E3C03D0
	v_mov_b32_e32 v31, v209                                    // 00000000B168: 7E3E03D1
	v_cmp_u_f32_e64 s[78:79], v30, v30                         // 00000000B16C: D048004E 00023D1E
	v_bfe_u32 v248, v30, 16, 1                                 // 00000000B174: D1C800F8 0205211E
	v_add3_u32 v248, v30, v248, v251                           // 00000000B17C: D1FF00F8 07EFF11E
	v_cndmask_b32_e64 v28, v248, v250, s[78:79]                // 00000000B184: D100001C 013BF5F8
	v_lshrrev_b32_e32 v28, 16, v28                             // 00000000B18C: 20383890
	v_cmp_u_f32_e64 s[78:79], v31, v31                         // 00000000B190: D048004E 00023F1F
	v_bfe_u32 v248, v31, 16, 1                                 // 00000000B198: D1C800F8 0205211F
	v_add3_u32 v248, v31, v248, v251                           // 00000000B1A0: D1FF00F8 07EFF11F
	v_cndmask_b32_e64 v29, v248, v250, s[78:79]                // 00000000B1A8: D100001D 013BF5F8
	v_and_or_b32 v180, v29, v249, v28                          // 00000000B1B0: D20100B4 0473F31D
	v_mov_b32_e32 v30, v210                                    // 00000000B1B8: 7E3C03D2
	v_mov_b32_e32 v31, v211                                    // 00000000B1BC: 7E3E03D3
	v_cmp_u_f32_e64 s[78:79], v30, v30                         // 00000000B1C0: D048004E 00023D1E
	v_bfe_u32 v248, v30, 16, 1                                 // 00000000B1C8: D1C800F8 0205211E
	v_add3_u32 v248, v30, v248, v251                           // 00000000B1D0: D1FF00F8 07EFF11E
	v_cndmask_b32_e64 v28, v248, v250, s[78:79]                // 00000000B1D8: D100001C 013BF5F8
	v_lshrrev_b32_e32 v28, 16, v28                             // 00000000B1E0: 20383890
	v_cmp_u_f32_e64 s[78:79], v31, v31                         // 00000000B1E4: D048004E 00023F1F
	v_bfe_u32 v248, v31, 16, 1                                 // 00000000B1EC: D1C800F8 0205211F
	v_add3_u32 v248, v31, v248, v251                           // 00000000B1F4: D1FF00F8 07EFF11F
	v_cndmask_b32_e64 v29, v248, v250, s[78:79]                // 00000000B1FC: D100001D 013BF5F8
	v_and_or_b32 v181, v29, v249, v28                          // 00000000B204: D20100B5 0473F31D
	v_mov_b32_e32 v30, v212                                    // 00000000B20C: 7E3C03D4
	v_mov_b32_e32 v31, v213                                    // 00000000B210: 7E3E03D5
	v_cmp_u_f32_e64 s[78:79], v30, v30                         // 00000000B214: D048004E 00023D1E
	v_bfe_u32 v248, v30, 16, 1                                 // 00000000B21C: D1C800F8 0205211E
	v_add3_u32 v248, v30, v248, v251                           // 00000000B224: D1FF00F8 07EFF11E
	v_cndmask_b32_e64 v28, v248, v250, s[78:79]                // 00000000B22C: D100001C 013BF5F8
	v_lshrrev_b32_e32 v28, 16, v28                             // 00000000B234: 20383890
	v_cmp_u_f32_e64 s[78:79], v31, v31                         // 00000000B238: D048004E 00023F1F
	v_bfe_u32 v248, v31, 16, 1                                 // 00000000B240: D1C800F8 0205211F
	v_add3_u32 v248, v31, v248, v251                           // 00000000B248: D1FF00F8 07EFF11F
	v_cndmask_b32_e64 v29, v248, v250, s[78:79]                // 00000000B250: D100001D 013BF5F8
	v_and_or_b32 v182, v29, v249, v28                          // 00000000B258: D20100B6 0473F31D
	v_mov_b32_e32 v30, v214                                    // 00000000B260: 7E3C03D6
	v_mov_b32_e32 v31, v215                                    // 00000000B264: 7E3E03D7
	v_cmp_u_f32_e64 s[78:79], v30, v30                         // 00000000B268: D048004E 00023D1E
	v_bfe_u32 v248, v30, 16, 1                                 // 00000000B270: D1C800F8 0205211E
	v_add3_u32 v248, v30, v248, v251                           // 00000000B278: D1FF00F8 07EFF11E
	v_cndmask_b32_e64 v28, v248, v250, s[78:79]                // 00000000B280: D100001C 013BF5F8
	v_lshrrev_b32_e32 v28, 16, v28                             // 00000000B288: 20383890
	v_cmp_u_f32_e64 s[78:79], v31, v31                         // 00000000B28C: D048004E 00023F1F
	v_bfe_u32 v248, v31, 16, 1                                 // 00000000B294: D1C800F8 0205211F
	v_add3_u32 v248, v31, v248, v251                           // 00000000B29C: D1FF00F8 07EFF11F
	v_cndmask_b32_e64 v29, v248, v250, s[78:79]                // 00000000B2A4: D100001D 013BF5F8
	v_and_or_b32 v183, v29, v249, v28                          // 00000000B2AC: D20100B7 0473F31D
	ds_write_b64 v25, v[168:169] offset:16896                  // 00000000B2B4: D89A4200 0000A819
	ds_write_b64 v25, v[170:171] offset:17424                  // 00000000B2BC: D89A4410 0000AA19
	ds_write_b64 v25, v[172:173] offset:17952                  // 00000000B2C4: D89A4620 0000AC19
	ds_write_b64 v25, v[174:175] offset:18480                  // 00000000B2CC: D89A4830 0000AE19
	ds_write_b64 v25, v[176:177] offset:19008                  // 00000000B2D4: D89A4A40 0000B019
	ds_write_b64 v25, v[178:179] offset:19536                  // 00000000B2DC: D89A4C50 0000B219
	ds_write_b64 v25, v[180:181] offset:20064                  // 00000000B2E4: D89A4E60 0000B419
	ds_write_b64 v25, v[182:183] offset:20592                  // 00000000B2EC: D89A5070 0000B619
	s_waitcnt lgkmcnt(0)                                       // 00000000B2F4: BF8CC07F
	s_barrier                                                  // 00000000B2F8: BF8A0000
	ds_read_b64 v[168:169], v24 offset:16896                   // 00000000B2FC: D8EC4200 A8000018
	ds_read_b64 v[170:171], v24 offset:17024                   // 00000000B304: D8EC4280 AA000018
	ds_read_b64 v[172:173], v24 offset:16928                   // 00000000B30C: D8EC4220 AC000018
	ds_read_b64 v[174:175], v24 offset:17056                   // 00000000B314: D8EC42A0 AE000018
	ds_read_b64 v[176:177], v24 offset:16960                   // 00000000B31C: D8EC4240 B0000018
	ds_read_b64 v[178:179], v24 offset:17088                   // 00000000B324: D8EC42C0 B2000018
	ds_read_b64 v[180:181], v24 offset:16992                   // 00000000B32C: D8EC4260 B4000018
	ds_read_b64 v[182:183], v24 offset:17120                   // 00000000B334: D8EC42E0 B6000018
	s_waitcnt lgkmcnt(0)                                       // 00000000B33C: BF8CC07F
	buffer_store_dwordx4 v[168:171], v6, s[40:43], 0 idxen     // 00000000B340: E07C2000 800AA806
	v_add_u32_e32 v6, s46, v6                                  // 00000000B348: 680C0C2E
	buffer_store_dwordx4 v[172:175], v6, s[40:43], 0 idxen     // 00000000B34C: E07C2000 800AAC06
	v_add_u32_e32 v6, s46, v6                                  // 00000000B354: 680C0C2E
	buffer_store_dwordx4 v[176:179], v6, s[40:43], 0 idxen     // 00000000B358: E07C2000 800AB006
	v_add_u32_e32 v6, s46, v6                                  // 00000000B360: 680C0C2E
	buffer_store_dwordx4 v[180:183], v6, s[40:43], 0 idxen     // 00000000B364: E07C2000 800AB406
	v_add_u32_e32 v6, s46, v6                                  // 00000000B36C: 680C0C2E
	s_mul_i32 s60, 12, s46                                     // 00000000B370: 923C2E8C
	v_add_u32_e32 v6, s60, v6                                  // 00000000B374: 680C0C3C
	s_cmp_ge_i32 2, s72                                        // 00000000B378: BF034882
	s_cbranch_scc1 label_1EE3                                  // 00000000B37C: BF850183
	v_mov_b32_e32 v30, v216                                    // 00000000B380: 7E3C03D8
	v_mov_b32_e32 v31, v217                                    // 00000000B384: 7E3E03D9
	v_cmp_u_f32_e64 s[78:79], v30, v30                         // 00000000B388: D048004E 00023D1E
	v_bfe_u32 v248, v30, 16, 1                                 // 00000000B390: D1C800F8 0205211E
	v_add3_u32 v248, v30, v248, v251                           // 00000000B398: D1FF00F8 07EFF11E
	v_cndmask_b32_e64 v28, v248, v250, s[78:79]                // 00000000B3A0: D100001C 013BF5F8
	v_lshrrev_b32_e32 v28, 16, v28                             // 00000000B3A8: 20383890
	v_cmp_u_f32_e64 s[78:79], v31, v31                         // 00000000B3AC: D048004E 00023F1F
	v_bfe_u32 v248, v31, 16, 1                                 // 00000000B3B4: D1C800F8 0205211F
	v_add3_u32 v248, v31, v248, v251                           // 00000000B3BC: D1FF00F8 07EFF11F
	v_cndmask_b32_e64 v29, v248, v250, s[78:79]                // 00000000B3C4: D100001D 013BF5F8
	v_and_or_b32 v184, v29, v249, v28                          // 00000000B3CC: D20100B8 0473F31D
	v_mov_b32_e32 v30, v218                                    // 00000000B3D4: 7E3C03DA
	v_mov_b32_e32 v31, v219                                    // 00000000B3D8: 7E3E03DB
	v_cmp_u_f32_e64 s[78:79], v30, v30                         // 00000000B3DC: D048004E 00023D1E
	v_bfe_u32 v248, v30, 16, 1                                 // 00000000B3E4: D1C800F8 0205211E
	v_add3_u32 v248, v30, v248, v251                           // 00000000B3EC: D1FF00F8 07EFF11E
	v_cndmask_b32_e64 v28, v248, v250, s[78:79]                // 00000000B3F4: D100001C 013BF5F8
	v_lshrrev_b32_e32 v28, 16, v28                             // 00000000B3FC: 20383890
	v_cmp_u_f32_e64 s[78:79], v31, v31                         // 00000000B400: D048004E 00023F1F
	v_bfe_u32 v248, v31, 16, 1                                 // 00000000B408: D1C800F8 0205211F
	v_add3_u32 v248, v31, v248, v251                           // 00000000B410: D1FF00F8 07EFF11F
	v_cndmask_b32_e64 v29, v248, v250, s[78:79]                // 00000000B418: D100001D 013BF5F8
	v_and_or_b32 v185, v29, v249, v28                          // 00000000B420: D20100B9 0473F31D
	v_mov_b32_e32 v30, v220                                    // 00000000B428: 7E3C03DC
	v_mov_b32_e32 v31, v221                                    // 00000000B42C: 7E3E03DD
	v_cmp_u_f32_e64 s[78:79], v30, v30                         // 00000000B430: D048004E 00023D1E
	v_bfe_u32 v248, v30, 16, 1                                 // 00000000B438: D1C800F8 0205211E
	v_add3_u32 v248, v30, v248, v251                           // 00000000B440: D1FF00F8 07EFF11E
	v_cndmask_b32_e64 v28, v248, v250, s[78:79]                // 00000000B448: D100001C 013BF5F8
	v_lshrrev_b32_e32 v28, 16, v28                             // 00000000B450: 20383890
	v_cmp_u_f32_e64 s[78:79], v31, v31                         // 00000000B454: D048004E 00023F1F
	v_bfe_u32 v248, v31, 16, 1                                 // 00000000B45C: D1C800F8 0205211F
	v_add3_u32 v248, v31, v248, v251                           // 00000000B464: D1FF00F8 07EFF11F
	v_cndmask_b32_e64 v29, v248, v250, s[78:79]                // 00000000B46C: D100001D 013BF5F8
	v_and_or_b32 v186, v29, v249, v28                          // 00000000B474: D20100BA 0473F31D
	v_mov_b32_e32 v30, v222                                    // 00000000B47C: 7E3C03DE
	v_mov_b32_e32 v31, v223                                    // 00000000B480: 7E3E03DF
	v_cmp_u_f32_e64 s[78:79], v30, v30                         // 00000000B484: D048004E 00023D1E
	v_bfe_u32 v248, v30, 16, 1                                 // 00000000B48C: D1C800F8 0205211E
	v_add3_u32 v248, v30, v248, v251                           // 00000000B494: D1FF00F8 07EFF11E
	v_cndmask_b32_e64 v28, v248, v250, s[78:79]                // 00000000B49C: D100001C 013BF5F8
	v_lshrrev_b32_e32 v28, 16, v28                             // 00000000B4A4: 20383890
	v_cmp_u_f32_e64 s[78:79], v31, v31                         // 00000000B4A8: D048004E 00023F1F
	v_bfe_u32 v248, v31, 16, 1                                 // 00000000B4B0: D1C800F8 0205211F
	v_add3_u32 v248, v31, v248, v251                           // 00000000B4B8: D1FF00F8 07EFF11F
	v_cndmask_b32_e64 v29, v248, v250, s[78:79]                // 00000000B4C0: D100001D 013BF5F8
	v_and_or_b32 v187, v29, v249, v28                          // 00000000B4C8: D20100BB 0473F31D
	v_mov_b32_e32 v30, v224                                    // 00000000B4D0: 7E3C03E0
	v_mov_b32_e32 v31, v225                                    // 00000000B4D4: 7E3E03E1
	v_cmp_u_f32_e64 s[78:79], v30, v30                         // 00000000B4D8: D048004E 00023D1E
	v_bfe_u32 v248, v30, 16, 1                                 // 00000000B4E0: D1C800F8 0205211E
	v_add3_u32 v248, v30, v248, v251                           // 00000000B4E8: D1FF00F8 07EFF11E
	v_cndmask_b32_e64 v28, v248, v250, s[78:79]                // 00000000B4F0: D100001C 013BF5F8
	v_lshrrev_b32_e32 v28, 16, v28                             // 00000000B4F8: 20383890
	v_cmp_u_f32_e64 s[78:79], v31, v31                         // 00000000B4FC: D048004E 00023F1F
	v_bfe_u32 v248, v31, 16, 1                                 // 00000000B504: D1C800F8 0205211F
	v_add3_u32 v248, v31, v248, v251                           // 00000000B50C: D1FF00F8 07EFF11F
	v_cndmask_b32_e64 v29, v248, v250, s[78:79]                // 00000000B514: D100001D 013BF5F8
	v_and_or_b32 v188, v29, v249, v28                          // 00000000B51C: D20100BC 0473F31D
	v_mov_b32_e32 v30, v226                                    // 00000000B524: 7E3C03E2
	v_mov_b32_e32 v31, v227                                    // 00000000B528: 7E3E03E3
	v_cmp_u_f32_e64 s[78:79], v30, v30                         // 00000000B52C: D048004E 00023D1E
	v_bfe_u32 v248, v30, 16, 1                                 // 00000000B534: D1C800F8 0205211E
	v_add3_u32 v248, v30, v248, v251                           // 00000000B53C: D1FF00F8 07EFF11E
	v_cndmask_b32_e64 v28, v248, v250, s[78:79]                // 00000000B544: D100001C 013BF5F8
	v_lshrrev_b32_e32 v28, 16, v28                             // 00000000B54C: 20383890
	v_cmp_u_f32_e64 s[78:79], v31, v31                         // 00000000B550: D048004E 00023F1F
	v_bfe_u32 v248, v31, 16, 1                                 // 00000000B558: D1C800F8 0205211F
	v_add3_u32 v248, v31, v248, v251                           // 00000000B560: D1FF00F8 07EFF11F
	v_cndmask_b32_e64 v29, v248, v250, s[78:79]                // 00000000B568: D100001D 013BF5F8
	v_and_or_b32 v189, v29, v249, v28                          // 00000000B570: D20100BD 0473F31D
	v_mov_b32_e32 v30, v228                                    // 00000000B578: 7E3C03E4
	v_mov_b32_e32 v31, v229                                    // 00000000B57C: 7E3E03E5
	v_cmp_u_f32_e64 s[78:79], v30, v30                         // 00000000B580: D048004E 00023D1E
	v_bfe_u32 v248, v30, 16, 1                                 // 00000000B588: D1C800F8 0205211E
	v_add3_u32 v248, v30, v248, v251                           // 00000000B590: D1FF00F8 07EFF11E
	v_cndmask_b32_e64 v28, v248, v250, s[78:79]                // 00000000B598: D100001C 013BF5F8
	v_lshrrev_b32_e32 v28, 16, v28                             // 00000000B5A0: 20383890
	v_cmp_u_f32_e64 s[78:79], v31, v31                         // 00000000B5A4: D048004E 00023F1F
	v_bfe_u32 v248, v31, 16, 1                                 // 00000000B5AC: D1C800F8 0205211F
	v_add3_u32 v248, v31, v248, v251                           // 00000000B5B4: D1FF00F8 07EFF11F
	v_cndmask_b32_e64 v29, v248, v250, s[78:79]                // 00000000B5BC: D100001D 013BF5F8
	v_and_or_b32 v190, v29, v249, v28                          // 00000000B5C4: D20100BE 0473F31D
	v_mov_b32_e32 v30, v230                                    // 00000000B5CC: 7E3C03E6
	v_mov_b32_e32 v31, v231                                    // 00000000B5D0: 7E3E03E7
	v_cmp_u_f32_e64 s[78:79], v30, v30                         // 00000000B5D4: D048004E 00023D1E
	v_bfe_u32 v248, v30, 16, 1                                 // 00000000B5DC: D1C800F8 0205211E
	v_add3_u32 v248, v30, v248, v251                           // 00000000B5E4: D1FF00F8 07EFF11E
	v_cndmask_b32_e64 v28, v248, v250, s[78:79]                // 00000000B5EC: D100001C 013BF5F8
	v_lshrrev_b32_e32 v28, 16, v28                             // 00000000B5F4: 20383890
	v_cmp_u_f32_e64 s[78:79], v31, v31                         // 00000000B5F8: D048004E 00023F1F
	v_bfe_u32 v248, v31, 16, 1                                 // 00000000B600: D1C800F8 0205211F
	v_add3_u32 v248, v31, v248, v251                           // 00000000B608: D1FF00F8 07EFF11F
	v_cndmask_b32_e64 v29, v248, v250, s[78:79]                // 00000000B610: D100001D 013BF5F8
	v_and_or_b32 v191, v29, v249, v28                          // 00000000B618: D20100BF 0473F31D
	v_mov_b32_e32 v30, v232                                    // 00000000B620: 7E3C03E8
	v_mov_b32_e32 v31, v233                                    // 00000000B624: 7E3E03E9
	v_cmp_u_f32_e64 s[78:79], v30, v30                         // 00000000B628: D048004E 00023D1E
	v_bfe_u32 v248, v30, 16, 1                                 // 00000000B630: D1C800F8 0205211E
	v_add3_u32 v248, v30, v248, v251                           // 00000000B638: D1FF00F8 07EFF11E
	v_cndmask_b32_e64 v28, v248, v250, s[78:79]                // 00000000B640: D100001C 013BF5F8
	v_lshrrev_b32_e32 v28, 16, v28                             // 00000000B648: 20383890
	v_cmp_u_f32_e64 s[78:79], v31, v31                         // 00000000B64C: D048004E 00023F1F
	v_bfe_u32 v248, v31, 16, 1                                 // 00000000B654: D1C800F8 0205211F
	v_add3_u32 v248, v31, v248, v251                           // 00000000B65C: D1FF00F8 07EFF11F
	v_cndmask_b32_e64 v29, v248, v250, s[78:79]                // 00000000B664: D100001D 013BF5F8
	v_and_or_b32 v192, v29, v249, v28                          // 00000000B66C: D20100C0 0473F31D
	v_mov_b32_e32 v30, v234                                    // 00000000B674: 7E3C03EA
	v_mov_b32_e32 v31, v235                                    // 00000000B678: 7E3E03EB
	v_cmp_u_f32_e64 s[78:79], v30, v30                         // 00000000B67C: D048004E 00023D1E
	v_bfe_u32 v248, v30, 16, 1                                 // 00000000B684: D1C800F8 0205211E
	v_add3_u32 v248, v30, v248, v251                           // 00000000B68C: D1FF00F8 07EFF11E
	v_cndmask_b32_e64 v28, v248, v250, s[78:79]                // 00000000B694: D100001C 013BF5F8
	v_lshrrev_b32_e32 v28, 16, v28                             // 00000000B69C: 20383890
	v_cmp_u_f32_e64 s[78:79], v31, v31                         // 00000000B6A0: D048004E 00023F1F
	v_bfe_u32 v248, v31, 16, 1                                 // 00000000B6A8: D1C800F8 0205211F
	v_add3_u32 v248, v31, v248, v251                           // 00000000B6B0: D1FF00F8 07EFF11F
	v_cndmask_b32_e64 v29, v248, v250, s[78:79]                // 00000000B6B8: D100001D 013BF5F8
	v_and_or_b32 v193, v29, v249, v28                          // 00000000B6C0: D20100C1 0473F31D
	v_mov_b32_e32 v30, v236                                    // 00000000B6C8: 7E3C03EC
	v_mov_b32_e32 v31, v237                                    // 00000000B6CC: 7E3E03ED
	v_cmp_u_f32_e64 s[78:79], v30, v30                         // 00000000B6D0: D048004E 00023D1E
	v_bfe_u32 v248, v30, 16, 1                                 // 00000000B6D8: D1C800F8 0205211E
	v_add3_u32 v248, v30, v248, v251                           // 00000000B6E0: D1FF00F8 07EFF11E
	v_cndmask_b32_e64 v28, v248, v250, s[78:79]                // 00000000B6E8: D100001C 013BF5F8
	v_lshrrev_b32_e32 v28, 16, v28                             // 00000000B6F0: 20383890
	v_cmp_u_f32_e64 s[78:79], v31, v31                         // 00000000B6F4: D048004E 00023F1F
	v_bfe_u32 v248, v31, 16, 1                                 // 00000000B6FC: D1C800F8 0205211F
	v_add3_u32 v248, v31, v248, v251                           // 00000000B704: D1FF00F8 07EFF11F
	v_cndmask_b32_e64 v29, v248, v250, s[78:79]                // 00000000B70C: D100001D 013BF5F8
	v_and_or_b32 v194, v29, v249, v28                          // 00000000B714: D20100C2 0473F31D
	v_mov_b32_e32 v30, v238                                    // 00000000B71C: 7E3C03EE
	v_mov_b32_e32 v31, v239                                    // 00000000B720: 7E3E03EF
	v_cmp_u_f32_e64 s[78:79], v30, v30                         // 00000000B724: D048004E 00023D1E
	v_bfe_u32 v248, v30, 16, 1                                 // 00000000B72C: D1C800F8 0205211E
	v_add3_u32 v248, v30, v248, v251                           // 00000000B734: D1FF00F8 07EFF11E
	v_cndmask_b32_e64 v28, v248, v250, s[78:79]                // 00000000B73C: D100001C 013BF5F8
	v_lshrrev_b32_e32 v28, 16, v28                             // 00000000B744: 20383890
	v_cmp_u_f32_e64 s[78:79], v31, v31                         // 00000000B748: D048004E 00023F1F
	v_bfe_u32 v248, v31, 16, 1                                 // 00000000B750: D1C800F8 0205211F
	v_add3_u32 v248, v31, v248, v251                           // 00000000B758: D1FF00F8 07EFF11F
	v_cndmask_b32_e64 v29, v248, v250, s[78:79]                // 00000000B760: D100001D 013BF5F8
	v_and_or_b32 v195, v29, v249, v28                          // 00000000B768: D20100C3 0473F31D
	v_mov_b32_e32 v30, v240                                    // 00000000B770: 7E3C03F0
	v_mov_b32_e32 v31, v241                                    // 00000000B774: 7E3E03F1
	v_cmp_u_f32_e64 s[78:79], v30, v30                         // 00000000B778: D048004E 00023D1E
	v_bfe_u32 v248, v30, 16, 1                                 // 00000000B780: D1C800F8 0205211E
	v_add3_u32 v248, v30, v248, v251                           // 00000000B788: D1FF00F8 07EFF11E
	v_cndmask_b32_e64 v28, v248, v250, s[78:79]                // 00000000B790: D100001C 013BF5F8
	v_lshrrev_b32_e32 v28, 16, v28                             // 00000000B798: 20383890
	v_cmp_u_f32_e64 s[78:79], v31, v31                         // 00000000B79C: D048004E 00023F1F
	v_bfe_u32 v248, v31, 16, 1                                 // 00000000B7A4: D1C800F8 0205211F
	v_add3_u32 v248, v31, v248, v251                           // 00000000B7AC: D1FF00F8 07EFF11F
	v_cndmask_b32_e64 v29, v248, v250, s[78:79]                // 00000000B7B4: D100001D 013BF5F8
	v_and_or_b32 v196, v29, v249, v28                          // 00000000B7BC: D20100C4 0473F31D
	v_mov_b32_e32 v30, v242                                    // 00000000B7C4: 7E3C03F2
	v_mov_b32_e32 v31, v243                                    // 00000000B7C8: 7E3E03F3
	v_cmp_u_f32_e64 s[78:79], v30, v30                         // 00000000B7CC: D048004E 00023D1E
	v_bfe_u32 v248, v30, 16, 1                                 // 00000000B7D4: D1C800F8 0205211E
	v_add3_u32 v248, v30, v248, v251                           // 00000000B7DC: D1FF00F8 07EFF11E
	v_cndmask_b32_e64 v28, v248, v250, s[78:79]                // 00000000B7E4: D100001C 013BF5F8
	v_lshrrev_b32_e32 v28, 16, v28                             // 00000000B7EC: 20383890
	v_cmp_u_f32_e64 s[78:79], v31, v31                         // 00000000B7F0: D048004E 00023F1F
	v_bfe_u32 v248, v31, 16, 1                                 // 00000000B7F8: D1C800F8 0205211F
	v_add3_u32 v248, v31, v248, v251                           // 00000000B800: D1FF00F8 07EFF11F
	v_cndmask_b32_e64 v29, v248, v250, s[78:79]                // 00000000B808: D100001D 013BF5F8
	v_and_or_b32 v197, v29, v249, v28                          // 00000000B810: D20100C5 0473F31D
	v_mov_b32_e32 v30, v244                                    // 00000000B818: 7E3C03F4
	v_mov_b32_e32 v31, v245                                    // 00000000B81C: 7E3E03F5
	v_cmp_u_f32_e64 s[78:79], v30, v30                         // 00000000B820: D048004E 00023D1E
	v_bfe_u32 v248, v30, 16, 1                                 // 00000000B828: D1C800F8 0205211E
	v_add3_u32 v248, v30, v248, v251                           // 00000000B830: D1FF00F8 07EFF11E
	v_cndmask_b32_e64 v28, v248, v250, s[78:79]                // 00000000B838: D100001C 013BF5F8
	v_lshrrev_b32_e32 v28, 16, v28                             // 00000000B840: 20383890
	v_cmp_u_f32_e64 s[78:79], v31, v31                         // 00000000B844: D048004E 00023F1F
	v_bfe_u32 v248, v31, 16, 1                                 // 00000000B84C: D1C800F8 0205211F
	v_add3_u32 v248, v31, v248, v251                           // 00000000B854: D1FF00F8 07EFF11F
	v_cndmask_b32_e64 v29, v248, v250, s[78:79]                // 00000000B85C: D100001D 013BF5F8
	v_and_or_b32 v198, v29, v249, v28                          // 00000000B864: D20100C6 0473F31D
	v_mov_b32_e32 v30, v246                                    // 00000000B86C: 7E3C03F6
	v_mov_b32_e32 v31, v247                                    // 00000000B870: 7E3E03F7
	v_cmp_u_f32_e64 s[78:79], v30, v30                         // 00000000B874: D048004E 00023D1E
	v_bfe_u32 v248, v30, 16, 1                                 // 00000000B87C: D1C800F8 0205211E
	v_add3_u32 v248, v30, v248, v251                           // 00000000B884: D1FF00F8 07EFF11E
	v_cndmask_b32_e64 v28, v248, v250, s[78:79]                // 00000000B88C: D100001C 013BF5F8
	v_lshrrev_b32_e32 v28, 16, v28                             // 00000000B894: 20383890
	v_cmp_u_f32_e64 s[78:79], v31, v31                         // 00000000B898: D048004E 00023F1F
	v_bfe_u32 v248, v31, 16, 1                                 // 00000000B8A0: D1C800F8 0205211F
	v_add3_u32 v248, v31, v248, v251                           // 00000000B8A8: D1FF00F8 07EFF11F
	v_cndmask_b32_e64 v29, v248, v250, s[78:79]                // 00000000B8B0: D100001D 013BF5F8
	v_and_or_b32 v199, v29, v249, v28                          // 00000000B8B8: D20100C7 0473F31D
	ds_write_b64 v25, v[184:185] offset:33792                  // 00000000B8C0: D89A8400 0000B819
	ds_write_b64 v25, v[186:187] offset:34320                  // 00000000B8C8: D89A8610 0000BA19
	ds_write_b64 v25, v[188:189] offset:34848                  // 00000000B8D0: D89A8820 0000BC19
	ds_write_b64 v25, v[190:191] offset:35376                  // 00000000B8D8: D89A8A30 0000BE19
	ds_write_b64 v25, v[192:193] offset:35904                  // 00000000B8E0: D89A8C40 0000C019
	ds_write_b64 v25, v[194:195] offset:36432                  // 00000000B8E8: D89A8E50 0000C219
	ds_write_b64 v25, v[196:197] offset:36960                  // 00000000B8F0: D89A9060 0000C419
	ds_write_b64 v25, v[198:199] offset:37488                  // 00000000B8F8: D89A9270 0000C619
	s_waitcnt lgkmcnt(0)                                       // 00000000B900: BF8CC07F
	s_barrier                                                  // 00000000B904: BF8A0000
	ds_read_b64 v[184:185], v24 offset:33792                   // 00000000B908: D8EC8400 B8000018
	ds_read_b64 v[186:187], v24 offset:33920                   // 00000000B910: D8EC8480 BA000018
	ds_read_b64 v[188:189], v24 offset:33824                   // 00000000B918: D8EC8420 BC000018
	ds_read_b64 v[190:191], v24 offset:33952                   // 00000000B920: D8EC84A0 BE000018
	ds_read_b64 v[192:193], v24 offset:33856                   // 00000000B928: D8EC8440 C0000018
	ds_read_b64 v[194:195], v24 offset:33984                   // 00000000B930: D8EC84C0 C2000018
	ds_read_b64 v[196:197], v24 offset:33888                   // 00000000B938: D8EC8460 C4000018
	ds_read_b64 v[198:199], v24 offset:34016                   // 00000000B940: D8EC84E0 C6000018
	s_waitcnt lgkmcnt(0)                                       // 00000000B948: BF8CC07F
	buffer_store_dwordx4 v[184:187], v6, s[40:43], 0 idxen     // 00000000B94C: E07C2000 800AB806
	v_add_u32_e32 v6, s46, v6                                  // 00000000B954: 680C0C2E
	buffer_store_dwordx4 v[188:191], v6, s[40:43], 0 idxen     // 00000000B958: E07C2000 800ABC06
	v_add_u32_e32 v6, s46, v6                                  // 00000000B960: 680C0C2E
	buffer_store_dwordx4 v[192:195], v6, s[40:43], 0 idxen     // 00000000B964: E07C2000 800AC006
	v_add_u32_e32 v6, s46, v6                                  // 00000000B96C: 680C0C2E
	buffer_store_dwordx4 v[196:199], v6, s[40:43], 0 idxen     // 00000000B970: E07C2000 800AC406
	v_add_u32_e32 v6, s46, v6                                  // 00000000B978: 680C0C2E
	s_mul_i32 s60, 12, s46                                     // 00000000B97C: 923C2E8C
	v_add_u32_e32 v6, s60, v6                                  // 00000000B980: 680C0C3C
	s_cmp_ge_i32 3, s72                                        // 00000000B984: BF034883
	s_cbranch_scc1 label_1EE3                                  // 00000000B988: BF850000

000000000000b98c <label_1EE3>:
	s_waitcnt vmcnt(0) expcnt(0) lgkmcnt(0)                    // 00000000B98C: BF8C0000
	s_mov_b32 s32, s90                                         // 00000000B990: BEA0005A
	s_mov_b32 s33, s91                                         // 00000000B994: BEA1005B
	s_sub_i32 s60, s77, 1                                      // 00000000B998: 81BC814D
	s_sub_i32 s2, s60, s2                                      // 00000000B99C: 8182023C
	s_addk_i32 s75, 0x1                                        // 00000000B9A0: B74B0001
	s_cmp_lt_i32 s75, s76                                      // 00000000B9A4: BF044C4B
	s_cbranch_scc1 label_00FC                                  // 00000000B9A8: BF85E211
	s_endpgm                                                   // 00000000B9AC: BF810000
